;; amdgpu-corpus repo=zjin-lcf/HeCBench kind=compiled arch=gfx942 opt=O3
	.text
	.amdgcn_target "amdgcn-amd-amdhsa--gfx942"
	.amdhsa_code_object_version 6
	.protected	_Z5bonds12inArgsStruct13resultsStructi ; -- Begin function _Z5bonds12inArgsStruct13resultsStructi
	.globl	_Z5bonds12inArgsStruct13resultsStructi
	.p2align	8
	.type	_Z5bonds12inArgsStruct13resultsStructi,@function
_Z5bonds12inArgsStruct13resultsStructi: ; @_Z5bonds12inArgsStruct13resultsStructi
; %bb.0:
	s_load_dword s3, s[0:1], 0x6c
	s_load_dword s4, s[0:1], 0x58
	s_waitcnt lgkmcnt(0)
	s_and_b32 s3, s3, 0xffff
	s_mul_i32 s2, s2, s3
	v_add_u32_e32 v0, s2, v0
	v_cmp_gt_i32_e32 vcc, s4, v0
	s_and_saveexec_b64 s[2:3], vcc
	s_cbranch_execz .LBB0_225
; %bb.1:
	s_load_dwordx8 s[4:11], s[0:1], 0x10
	v_mov_b32_e32 v2, v0
	v_ashrrev_i32_e32 v3, 31, v2
	v_mov_b32_e32 v51, 0
	scratch_store_dwordx2 off, v[2:3], off offset:1244 ; 8-byte Folded Spill
	s_waitcnt lgkmcnt(0)
	v_mov_b32_e32 v0, s10
	v_mov_b32_e32 v1, s11
	v_mad_i64_i32 v[4:5], s[2:3], v2, 36, v[0:1]
	global_load_dword v0, v[4:5], off offset:28
	global_load_dword v1, v[4:5], off offset:12
	s_waitcnt vmcnt(0)
	v_cmp_gt_i32_e32 vcc, v0, v1
	scratch_store_dwordx2 off, v[4:5], off offset:1044 ; 8-byte Folded Spill
	s_and_saveexec_b64 s[10:11], vcc
	s_cbranch_execz .LBB0_9
; %bb.2:
	scratch_load_dwordx2 v[0:1], off, off offset:1044 ; 8-byte Folded Reload
	v_mov_b32_e32 v5, 31
	v_mov_b32_e32 v7, 28
	;; [unrolled: 1-line block ×6, first 2 shown]
	scratch_store_dwordx4 off, v[6:9], off offset:1028 ; 16-byte Folded Spill
	v_mov_b32_e32 v23, v9
	v_mov_b32_e32 v10, 0xb6
	;; [unrolled: 1-line block ×6, first 2 shown]
	scratch_store_dwordx4 off, v[6:9], off offset:1068 ; 16-byte Folded Spill
	v_mov_b32_e32 v11, 0xd5
	s_mov_b32 s20, 1
	v_mov_b32_e32 v6, 0x78
	v_mov_b32_e32 v7, 0x97
	v_mov_b32_e32 v8, 0xb5
	v_mov_b32_e32 v9, 0xd4
	scratch_store_dwordx4 off, v[6:9], off offset:1084 ; 16-byte Folded Spill
	s_mov_b32 s21, s20
	s_mov_b32 s22, s20
	v_mov_b32_e32 v6, 0xf3
	v_mov_b32_e32 v7, 0x111
	;; [unrolled: 1-line block ×4, first 2 shown]
	scratch_store_dwordx4 off, v[6:9], off offset:1100 ; 16-byte Folded Spill
	s_mov_b32 s23, s20
	v_mov_b64_e32 v[60:61], s[20:21]
	v_mov_b32_e32 v8, 0x79
	v_mov_b32_e32 v9, 0x98
	scratch_store_dwordx4 off, v[8:11], off offset:1116 ; 16-byte Folded Spill
	v_mov_b32_e32 v21, 29
	v_mov_b32_e32 v20, v5
	;; [unrolled: 1-line block ×6, first 2 shown]
	scratch_store_dwordx4 off, v[8:11], off offset:1132 ; 16-byte Folded Spill
	v_mov_b32_e32 v22, v5
	s_mov_b32 s16, 0
	v_mov_b32_e32 v8, 0x5b5
	v_mov_b32_e32 v9, 0x723
	v_mov_b32_e32 v10, 0x890
	v_mov_b32_e32 v11, 0x9fd
	scratch_store_dwordx4 off, v[8:11], off offset:1148 ; 16-byte Folded Spill
	s_mov_b64 s[12:13], 0
	s_mov_b32 s17, 0xaaaaaaab
	v_mov_b32_e32 v8, 0xb6a
	v_mov_b32_e32 v9, 0xcd8
	;; [unrolled: 1-line block ×4, first 2 shown]
	scratch_store_dwordx4 off, v[8:11], off offset:1164 ; 16-byte Folded Spill
	s_movk_i32 s18, 0xffee
	v_mov_b32_e32 v62, 0
	v_mov_b32_e32 v8, 0x111f
	v_mov_b32_e32 v9, 0x128d
	v_mov_b32_e32 v10, 0x13fa
	v_mov_b32_e32 v11, 0x1567
	scratch_store_dwordx4 off, v[8:11], off offset:1180 ; 16-byte Folded Spill
	scratch_store_dwordx4 off, v[20:23], off offset:1052 ; 16-byte Folded Spill
	v_mov_b32_e32 v69, 0x230
	v_mov_b32_e32 v8, 0x16d4
	;; [unrolled: 1-line block ×5, first 2 shown]
	scratch_store_dwordx4 off, v[8:11], off offset:1196 ; 16-byte Folded Spill
	v_mov_b32_e32 v70, 0x16d
	v_mov_b32_e32 v71, 0xab36
	;; [unrolled: 1-line block ×6, first 2 shown]
	scratch_store_dwordx4 off, v[8:11], off offset:1212 ; 16-byte Folded Spill
	v_mov_b32_e32 v6, 60
	v_mov_b32_e32 v7, 0x5b
	;; [unrolled: 1-line block ×4, first 2 shown]
	s_waitcnt vmcnt(12)
	global_load_dwordx3 v[56:58], v[0:1], off offset:16
	v_mov_b64_e32 v[0:1], s[20:21]
	v_mov_b64_e32 v[2:3], s[22:23]
	s_mov_b32 s21, 30
	s_mov_b32 s20, 31
	;; [unrolled: 1-line block ×6, first 2 shown]
	v_mov_b64_e32 v[12:13], s[20:21]
	s_mov_b32 s26, s21
	s_mov_b32 s27, s20
	v_mov_b64_e32 v[16:17], s[24:25]
	v_mov_b32_e32 v10, 0x2519
	v_mov_b32_e32 v11, 0x2686
	v_mov_b64_e32 v[14:15], s[22:23]
	v_mov_b64_e32 v[18:19], s[26:27]
	v_mov_b32_e32 v45, 0x16e
	v_mov_b32_e32 v46, 0x2db
	;; [unrolled: 1-line block ×3, first 2 shown]
	scratch_store_dwordx4 off, v[8:11], off offset:1228 ; 16-byte Folded Spill
	v_mov_b32_e32 v72, 0x27f3
	v_mov_b32_e32 v73, 0x2961
	;; [unrolled: 1-line block ×91, first 2 shown]
	s_branch .LBB0_4
.LBB0_3:                                ;   in Loop: Header=BB0_4 Depth=1
	s_or_b64 exec, exec, s[14:15]
	v_mov_b32_e32 v68, 1
	scratch_store_dwordx4 off, v[0:3], off
	scratch_store_dwordx4 off, v[0:3], off offset:16
	scratch_store_dwordx4 off, v[0:3], off offset:32
	;; [unrolled: 1-line block ×6, first 2 shown]
	scratch_store_byte off, v68, off offset:120
	scratch_store_dwordx2 off, v[60:61], off offset:112
	scratch_load_dwordx4 v[64:67], off, off offset:1052 ; 16-byte Folded Reload
	v_add_u32_e32 v56, 0xfffff894, v58
	v_add_u32_e32 v44, 0, v56
	scratch_load_ubyte v55, v44, off
	v_lshl_add_u32 v56, v56, 2, v62
	s_add_i32 s16, s16, 1
	s_waitcnt vmcnt(1)
	scratch_store_dwordx4 off, v[64:67], off offset:560
	scratch_store_dwordx4 off, v[12:15], off offset:576
	;; [unrolled: 1-line block ×3, first 2 shown]
	scratch_load_dwordx4 v[64:67], off, off offset:1028 ; 16-byte Folded Reload
	s_waitcnt vmcnt(0)
	scratch_store_dwordx4 off, v[64:67], off
	scratch_store_dwordx4 off, v[12:15], off offset:16
	scratch_store_dwordx4 off, v[16:19], off offset:32
	v_and_b32_e32 v55, 1, v55
	v_cmp_eq_u32_e32 vcc, 1, v55
	v_lshl_add_u32 v55, v59, 2, -4
	s_nop 0
	v_cndmask_b32_e32 v63, v62, v69, vcc
	v_add_u32_e32 v63, v63, v55
	scratch_load_dword v63, v63, off
	s_nop 0
	scratch_store_dwordx4 off, v[0:3], off
	scratch_store_dwordx4 off, v[0:3], off offset:16
	scratch_store_dwordx4 off, v[0:3], off offset:32
	;; [unrolled: 1-line block ×6, first 2 shown]
	scratch_store_byte off, v68, off offset:120
	scratch_store_dwordx2 off, v[60:61], off offset:112
	scratch_load_dwordx4 v[64:67], off, off offset:1116 ; 16-byte Folded Reload
	s_waitcnt vmcnt(10)
	v_min_i32_e32 v57, v63, v57
	scratch_load_ubyte v44, v44, off
	s_waitcnt vmcnt(0)
	v_and_b32_e32 v44, 1, v44
	scratch_store_dwordx4 off, v[64:67], off offset:576
	scratch_load_dwordx4 v[64:67], off, off offset:1132 ; 16-byte Folded Reload
	v_cmp_eq_u32_e32 vcc, 1, v44
	scratch_store_dwordx4 off, v[4:7], off offset:560
	s_waitcnt vmcnt(1)
	scratch_store_dwordx4 off, v[64:67], off offset:592
	scratch_store_dword off, v45, off offset:608
	scratch_load_dwordx4 v[64:67], off, off offset:1068 ; 16-byte Folded Reload
	v_cndmask_b32_e32 v44, v62, v69, vcc
	v_add_u32_e32 v63, v44, v55
	v_mov_b32_e32 v44, v4
	v_mov_b32_e32 v55, v53
	s_waitcnt vmcnt(0)
	scratch_store_dwordx4 off, v[64:67], off
	scratch_load_dwordx4 v[64:67], off, off offset:1084 ; 16-byte Folded Reload
	s_waitcnt vmcnt(0)
	scratch_store_dwordx4 off, v[64:67], off offset:16
	scratch_load_dwordx4 v[64:67], off, off offset:1100 ; 16-byte Folded Reload
	s_waitcnt vmcnt(0)
	scratch_store_dwordx4 off, v[64:67], off offset:32
	scratch_store_dword off, v70, off offset:48
	scratch_load_dwordx4 v[64:67], off, off offset:1148 ; 16-byte Folded Reload
	s_nop 0
	scratch_load_dword v63, v63, off
	s_nop 0
	scratch_store_dwordx4 off, v[44:47], off
	s_waitcnt vmcnt(2)
	scratch_store_dwordx4 off, v[64:67], off offset:16
	scratch_load_dwordx4 v[64:67], off, off offset:1164 ; 16-byte Folded Reload
	s_waitcnt vmcnt(0)
	scratch_store_dwordx4 off, v[64:67], off offset:32
	scratch_load_dwordx4 v[64:67], off, off offset:1180 ; 16-byte Folded Reload
	;; [unrolled: 3-line block ×5, first 2 shown]
	s_waitcnt vmcnt(0)
	scratch_store_dwordx4 off, v[64:67], off offset:96
	scratch_store_dwordx4 off, v[72:75], off offset:112
	;; [unrolled: 1-line block ×24, first 2 shown]
	scratch_store_dword off, v71, off offset:480
	scratch_load_dwordx2 v[64:65], off, off offset:1044 ; 8-byte Folded Reload
	scratch_load_dword v44, v56, off
	v_mov_b32_e32 v56, v59
	s_waitcnt vmcnt(1)
	global_load_dword v55, v[64:65], off offset:12
	s_waitcnt vmcnt(1)
	v_add3_u32 v44, v63, v57, v44
	s_waitcnt vmcnt(0)
	v_cmp_le_i32_e32 vcc, v44, v55
	s_or_b64 s[12:13], vcc, s[12:13]
	v_mov_b32_e32 v44, s16
	s_andn2_b64 exec, exec, s[12:13]
	s_cbranch_execz .LBB0_8
.LBB0_4:                                ; =>This Inner Loop Header: Depth=1
	s_waitcnt vmcnt(1)
	v_add_u32_e32 v59, -6, v56
	v_cmp_lt_i32_e32 vcc, 12, v59
	s_and_saveexec_b64 s[2:3], vcc
; %bb.5:                                ;   in Loop: Header=BB0_4 Depth=1
	v_sub_u32_e64 v44, v59, 24 clamp
	v_add_u32_e32 v44, 11, v44
	v_mul_hi_u32 v44, v44, s17
	v_lshrrev_b32_e32 v44, 3, v44
	v_mul_lo_u32 v55, v44, -12
	v_add3_u32 v59, v56, v55, s18
	v_add3_u32 v58, v58, v44, 1
; %bb.6:                                ;   in Loop: Header=BB0_4 Depth=1
	s_or_b64 exec, exec, s[2:3]
	v_cmp_gt_i32_e32 vcc, 1, v59
	s_and_saveexec_b64 s[14:15], vcc
	s_cbranch_execz .LBB0_3
; %bb.7:                                ;   in Loop: Header=BB0_4 Depth=1
	v_max_i32_e32 v44, -11, v59
	v_cmp_gt_i32_e32 vcc, -11, v59
	s_nop 1
	v_subb_co_u32_e64 v44, s[2:3], v44, v59, vcc
	v_mul_hi_u32 v44, v44, s17
	v_lshrrev_b32_e32 v44, 3, v44
	v_addc_co_u32_e32 v44, vcc, 0, v44, vcc
	v_mul_lo_u32 v55, v44, 12
	v_add3_u32 v59, v59, v55, 12
	v_xad_u32 v58, v44, -1, v58
	s_branch .LBB0_3
.LBB0_8:
	s_or_b64 exec, exec, s[12:13]
	v_mov_b32_e32 v51, v44
.LBB0_9:
	s_or_b64 exec, exec, s[10:11]
	s_load_dwordx2 s[10:11], s[0:1], 0x0
	s_load_dwordx8 s[12:19], s[0:1], 0x38
	scratch_load_dwordx2 v[4:5], off, off offset:1044 ; 8-byte Folded Reload
	s_waitcnt vmcnt(0)
	global_load_dwordx3 v[0:2], v[4:5], off offset:16
	global_load_dword v3, v[4:5], off offset:32
	s_waitcnt vmcnt(1)
	v_mad_u64_u32 v[52:53], s[0:1], v51, -6, v[0:1]
	v_cmp_lt_i32_e32 vcc, 12, v52
	v_mov_b32_e32 v54, v2
	s_waitcnt vmcnt(0)
	scratch_store_dword off, v3, off offset:1028 ; 4-byte Folded Spill
	s_and_saveexec_b64 s[0:1], vcc
; %bb.10:
	v_sub_u32_e64 v0, v52, 24 clamp
	v_add_u32_e32 v0, 11, v0
	s_mov_b32 s2, 0xaaaaaaab
	v_mul_hi_u32 v0, v0, s2
	v_lshrrev_b32_e32 v0, 3, v0
	v_mul_lo_u32 v3, v0, -12
	v_add3_u32 v52, v52, v3, -12
	v_add3_u32 v54, v2, v0, 1
; %bb.11:
	s_or_b64 exec, exec, s[0:1]
	s_mov_b32 s20, 1
	v_cmp_gt_i32_e32 vcc, 1, v52
	s_and_saveexec_b64 s[2:3], vcc
; %bb.12:
	v_max_i32_e32 v0, -11, v52
	v_cmp_gt_i32_e32 vcc, -11, v52
	s_nop 1
	v_subb_co_u32_e64 v0, s[0:1], v0, v52, vcc
	s_mov_b32 s0, 0xaaaaaaab
	s_nop 0
	v_mul_hi_u32 v0, v0, s0
	v_lshrrev_b32_e32 v0, 3, v0
	v_addc_co_u32_e32 v0, vcc, 0, v0, vcc
	v_mul_lo_u32 v2, v0, 12
	v_add3_u32 v52, v52, v2, 12
	v_xad_u32 v54, v0, -1, v54
; %bb.13:
	s_or_b64 exec, exec, s[2:3]
	s_mov_b32 s22, s20
	s_mov_b32 s23, s20
	;; [unrolled: 1-line block ×3, first 2 shown]
	v_mov_b64_e32 v[24:25], s[22:23]
	v_mov_b64_e32 v[22:23], s[20:21]
	v_mov_b32_e32 v9, 1
	v_mov_b64_e32 v[34:35], s[20:21]
	v_add_u32_e32 v3, 0xfffff894, v54
	scratch_store_dwordx4 off, v[22:25], off
	scratch_store_dwordx4 off, v[22:25], off offset:16
	scratch_store_dwordx4 off, v[22:25], off offset:32
	;; [unrolled: 1-line block ×6, first 2 shown]
	scratch_store_byte off, v9, off offset:120
	scratch_store_dwordx2 off, v[34:35], off offset:112
	v_add_u32_e32 v36, 0, v3
	scratch_load_ubyte v0, v36, off
	s_mov_b32 s0, 31
	s_mov_b32 s1, 30
	;; [unrolled: 1-line block ×6, first 2 shown]
	v_mov_b64_e32 v[28:29], s[2:3]
	v_mov_b32_e32 v40, 0
	v_mov_b32_e32 v4, 31
	;; [unrolled: 1-line block ×4, first 2 shown]
	s_mov_b32 s20, s1
	s_mov_b32 s21, s0
	v_mov_b64_e32 v[26:27], s[0:1]
	v_mov_b64_e32 v[32:33], s[22:23]
	v_mov_b32_e32 v7, 30
	v_lshl_add_u32 v2, v52, 2, -4
	v_mov_b32_e32 v6, v4
	v_mov_b64_e32 v[30:31], s[20:21]
	scratch_store_dwordx4 off, v[26:29], off offset:576
	scratch_store_dwordx4 off, v[30:33], off offset:592
	scratch_store_dwordx4 off, v[4:7], off
	scratch_store_dwordx4 off, v[26:29], off offset:16
	scratch_store_dwordx4 off, v[30:33], off offset:32
	v_mov_b32_e32 v5, 29
	scratch_store_dwordx4 off, v[4:7], off offset:560
	v_mov_b32_e32 v10, 59
	v_mov_b32_e32 v11, 0x5a
	;; [unrolled: 1-line block ×57, first 2 shown]
	s_waitcnt vmcnt(6)
	v_and_b32_e32 v0, 1, v0
	v_cmp_eq_u32_e32 vcc, 1, v0
	v_mov_b32_e32 v80, 0x447c
	v_mov_b32_e32 v81, 0x45ea
	v_cndmask_b32_e32 v0, v40, v41, vcc
	v_add_u32_e32 v0, v0, v2
	scratch_load_dword v0, v0, off
	s_nop 0
	scratch_store_dwordx4 off, v[22:25], off
	scratch_store_dwordx4 off, v[22:25], off offset:16
	scratch_store_dwordx4 off, v[22:25], off offset:32
	;; [unrolled: 1-line block ×6, first 2 shown]
	scratch_store_byte off, v9, off offset:120
	scratch_store_dwordx2 off, v[34:35], off offset:112
	scratch_load_ubyte v5, v36, off
	v_mov_b32_e32 v22, 0xb6
	v_mov_b32_e32 v23, 0xd5
	;; [unrolled: 1-line block ×5, first 2 shown]
	scratch_store_dwordx4 off, v[20:23], off offset:576
	scratch_store_dwordx4 off, v[24:27], off offset:592
	scratch_store_dwordx4 off, v[8:11], off
	scratch_store_dwordx4 off, v[12:15], off offset:16
	scratch_store_dwordx4 off, v[16:19], off offset:32
	scratch_store_dword off, v50, off offset:48
	v_mov_b32_e32 v10, 60
	v_mov_b32_e32 v11, 0x5b
	scratch_store_dwordx4 off, v[8:11], off offset:560
	v_mov_b32_e32 v34, 0xe45
	v_mov_b32_e32 v35, 0xfb2
	;; [unrolled: 1-line block ×5, first 2 shown]
	scratch_store_dword off, v9, off offset:608
	v_mov_b32_e32 v36, 0x111f
	v_mov_b32_e32 v82, 0x4757
	;; [unrolled: 1-line block ×13, first 2 shown]
	v_lshl_add_u32 v3, v3, 2, v40
	s_waitcnt vmcnt(8)
	v_and_b32_e32 v4, 1, v5
	v_cmp_eq_u32_e32 vcc, 1, v4
	v_mov_b32_e32 v5, 0x5cbe
	s_nop 0
	v_cndmask_b32_e32 v4, v40, v41, vcc
	v_add_u32_e32 v2, v4, v2
	scratch_load_dword v2, v2, off
	s_nop 0
	scratch_store_dwordx4 off, v[8:11], off
	scratch_store_dwordx4 off, v[28:31], off offset:16
	scratch_store_dwordx4 off, v[32:35], off offset:32
	;; [unrolled: 1-line block ×14, first 2 shown]
	v_mov_b32_e32 v8, 0x5876
	v_mov_b32_e32 v9, 0x59e3
	scratch_store_dwordx4 off, v[6:9], off offset:240
	v_mov_b32_e32 v4, 0x5b50
	v_add_u32_e32 v56, 6, v52
	v_mov_b32_e32 v6, 0x5e2b
	v_mov_b32_e32 v7, 0x5f98
	scratch_store_dwordx4 off, v[4:7], off offset:256
	v_cmp_lt_i32_e32 vcc, 12, v56
	v_mov_b32_e32 v57, v54
	v_mov_b32_e32 v4, 0x6105
	;; [unrolled: 1-line block ×5, first 2 shown]
	scratch_store_dwordx4 off, v[4:7], off offset:272
	s_nop 1
	v_mov_b32_e32 v4, 0x66ba
	v_mov_b32_e32 v5, 0x6828
	v_mov_b32_e32 v6, 0x6995
	v_mov_b32_e32 v7, 0x6b02
	scratch_store_dwordx4 off, v[4:7], off offset:288
	s_nop 1
	v_mov_b32_e32 v4, 0x6c6f
	v_mov_b32_e32 v5, 0x6ddd
	v_mov_b32_e32 v6, 0x6f4a
	v_mov_b32_e32 v7, 0x70b7
	;; [unrolled: 6-line block ×12, first 2 shown]
	scratch_store_dwordx4 off, v[4:7], off offset:464
	s_nop 1
	v_mov_b32_e32 v4, 0xab36
	scratch_store_dword off, v4, off offset:480
	scratch_load_dword v3, v3, off
	s_and_saveexec_b64 s[0:1], vcc
; %bb.14:
	v_sub_u32_e64 v4, v56, 24 clamp
	v_add_u32_e32 v4, 11, v4
	s_mov_b32 s2, 0xaaaaaaab
	v_mul_hi_u32 v4, v4, s2
	v_lshrrev_b32_e32 v4, 3, v4
	v_mul_lo_u32 v5, v4, -12
	v_add3_u32 v56, v52, v5, -6
	v_add3_u32 v57, v54, v4, 1
; %bb.15:
	s_or_b64 exec, exec, s[0:1]
	v_cmp_gt_i32_e32 vcc, 1, v56
	scratch_store_dword off, v51, off offset:1228 ; 4-byte Folded Spill
	s_and_saveexec_b64 s[2:3], vcc
; %bb.16:
	v_max_i32_e32 v4, -11, v56
	v_cmp_gt_i32_e32 vcc, -11, v56
	s_nop 1
	v_subb_co_u32_e64 v4, s[0:1], v4, v56, vcc
	s_mov_b32 s0, 0xaaaaaaab
	s_nop 0
	v_mul_hi_u32 v4, v4, s0
	v_lshrrev_b32_e32 v4, 3, v4
	v_addc_co_u32_e32 v4, vcc, 0, v4, vcc
	v_mul_lo_u32 v5, v4, 12
	v_add3_u32 v56, v56, v5, 12
	v_xad_u32 v57, v4, -1, v57
; %bb.17:
	s_or_b64 exec, exec, s[2:3]
	s_mov_b32 s20, 1
	s_mov_b32 s21, s20
	;; [unrolled: 1-line block ×4, first 2 shown]
	v_mov_b64_e32 v[18:19], s[20:21]
	s_mov_b32 s2, s20
	s_mov_b32 s3, s20
	v_mov_b64_e32 v[20:21], s[22:23]
	v_mov_b32_e32 v66, 1
	v_mov_b64_e32 v[30:31], s[2:3]
	v_add_u32_e32 v53, 0xfffff894, v57
	scratch_store_dwordx4 off, v[18:21], off
	scratch_store_dwordx4 off, v[18:21], off offset:16
	scratch_store_dwordx4 off, v[18:21], off offset:32
	;; [unrolled: 1-line block ×6, first 2 shown]
	scratch_store_byte off, v66, off offset:120
	scratch_store_dwordx2 off, v[30:31], off offset:112
	v_add_u32_e32 v13, 0, v53
	scratch_load_ubyte v17, v13, off
	s_mov_b32 s25, 30
	s_mov_b32 s24, 31
	v_mov_b32_e32 v4, 31
	v_mov_b32_e32 v7, 30
	s_mov_b32 s28, s25
	s_mov_b32 s29, s24
	v_mov_b32_e32 v9, 29
	v_mov_b32_e32 v6, v4
	s_mov_b32 s26, s24
	s_mov_b32 s27, s24
	;; [unrolled: 1-line block ×4, first 2 shown]
	v_mov_b32_e32 v8, v4
	v_mov_b32_e32 v10, v4
	;; [unrolled: 1-line block ×3, first 2 shown]
	v_mov_b64_e32 v[22:23], s[24:25]
	v_mov_b64_e32 v[26:27], s[28:29]
	v_mov_b32_e32 v5, 28
	v_mov_b64_e32 v[24:25], s[26:27]
	v_mov_b64_e32 v[28:29], s[30:31]
	scratch_store_dwordx4 off, v[8:11], off offset:560
	scratch_store_dwordx4 off, v[22:25], off offset:576
	;; [unrolled: 1-line block ×3, first 2 shown]
	scratch_store_dwordx4 off, v[4:7], off
	scratch_store_dwordx4 off, v[22:25], off offset:16
	scratch_store_dwordx4 off, v[26:29], off offset:32
	v_mov_b32_e32 v67, 0
	v_mov_b32_e32 v55, 0x230
	v_lshl_add_u32 v16, v56, 2, -4
	v_mov_b32_e32 v12, 0
	v_mov_b32_e32 v26, 60
	;; [unrolled: 1-line block ×55, first 2 shown]
	s_waitcnt vmcnt(6)
	v_and_b32_e32 v6, 1, v17
	v_cmp_eq_u32_e32 vcc, 1, v6
	v_mov_b32_e32 v73, 0x34cb
	v_mov_b32_e32 v74, 0x3638
	v_cndmask_b32_e32 v6, v67, v55, vcc
	v_add_u32_e32 v6, v6, v16
	scratch_load_dword v6, v6, off
	s_nop 0
	scratch_store_dwordx4 off, v[18:21], off
	scratch_store_dwordx4 off, v[18:21], off offset:16
	scratch_store_dwordx4 off, v[18:21], off offset:32
	;; [unrolled: 1-line block ×6, first 2 shown]
	scratch_store_byte off, v66, off offset:120
	scratch_store_dwordx2 off, v[30:31], off offset:112
	scratch_load_ubyte v8, v13, off
	v_mov_b32_e32 v18, 0x79
	v_mov_b32_e32 v19, 0x98
	v_mov_b32_e32 v20, 0xb6
	v_mov_b32_e32 v21, 0xd5
	v_mov_b32_e32 v30, 0x131
	v_mov_b32_e32 v31, 0x14f
	v_mov_b32_e32 v13, v4
	scratch_store_dwordx4 off, v[24:27], off offset:560
	scratch_store_dwordx4 off, v[18:21], off offset:1084 ; 16-byte Folded Spill
	scratch_store_dwordx4 off, v[18:21], off offset:576
	scratch_store_dwordx4 off, v[28:31], off offset:1100 ; 16-byte Folded Spill
	scratch_store_dwordx4 off, v[28:31], off offset:592
	scratch_store_dword off, v37, off offset:608
	scratch_store_dwordx4 off, v[12:15], off
	scratch_store_dwordx4 off, v[32:35], off offset:1052 ; 16-byte Folded Spill
	scratch_store_dwordx4 off, v[32:35], off offset:16
	scratch_store_dwordx4 off, v[40:43], off offset:1068 ; 16-byte Folded Spill
	scratch_store_dwordx4 off, v[40:43], off offset:32
	scratch_store_dword off, v10, off offset:48
	v_mov_b32_e32 v75, 0x37a5
	v_mov_b32_e32 v76, 0x3912
	v_mov_b32_e32 v77, 0x3a80
	v_mov_b32_e32 v78, 0x3bed
	v_mov_b32_e32 v79, 0x3d5a
	v_mov_b32_e32 v80, 0x3ec7
	v_mov_b32_e32 v81, 0x4035
	v_mov_b32_e32 v82, 0x41a2
	v_mov_b32_e32 v83, 0x430f
	v_mov_b32_e32 v84, 0x447c
	v_mov_b32_e32 v85, 0x45ea
	v_mov_b32_e32 v86, 0x4757
	v_mov_b32_e32 v87, 0x48c4
	v_mov_b32_e32 v88, 0x4a31
	v_mov_b32_e32 v89, 0x4b9f
	v_mov_b32_e32 v90, 0x4d0c
	v_mov_b32_e32 v91, 0x4e79
	v_mov_b32_e32 v92, 0x4fe6
	v_mov_b32_e32 v93, 0x5154
	v_mov_b32_e32 v110, 0x6995
	v_mov_b32_e32 v111, 0x6b02
	v_mov_b32_e32 v112, 0x6c6f
	v_mov_b32_e32 v113, 0x6ddd
	v_mov_b32_e32 v114, 0x6f4a
	v_mov_b32_e32 v115, 0x70b7
	v_mov_b32_e32 v116, 0x7224
	v_mov_b32_e32 v117, 0x7392
	v_mov_b32_e32 v118, 0x74ff
	v_mov_b32_e32 v119, 0x766c
	v_mov_b32_e32 v120, 0x77d9
	v_mov_b32_e32 v121, 0x7947
	v_mov_b32_e32 v122, 0x7ab4
	v_mov_b32_e32 v123, 0x7c21
	v_mov_b32_e32 v124, 0x7d8e
	v_mov_b32_e32 v125, 0x7efc
	v_mov_b32_e32 v126, 0x8069
	v_mov_b32_e32 v127, 0x81d6
	v_mov_b32_e32 v17, 0x84b1
	v_mov_b32_e32 v18, 0x861e
	v_mov_b32_e32 v19, 0x878b
	v_mov_b32_e32 v20, 0x88f8
	v_mov_b32_e32 v21, 0x8a66
	v_mov_b32_e32 v22, 0x8bd3
	v_mov_b32_e32 v23, 0x8d40
	v_mov_b32_e32 v28, 0x8ead
	v_mov_b32_e32 v29, 0x901b
	v_mov_b32_e32 v30, 0x9188
	v_mov_b32_e32 v31, 0x92f5
	v_mov_b32_e32 v32, 0x9462
	v_mov_b32_e32 v33, 0x95d0
	v_mov_b32_e32 v34, 0x973d
	v_mov_b32_e32 v35, 0x98aa
	v_mov_b32_e32 v40, 0x9a17
	v_mov_b32_e32 v41, 0x9b85
	v_mov_b32_e32 v42, 0x9cf2
	v_mov_b32_e32 v43, 0x9e5f
	v_mov_b32_e32 v10, 0xab36
	v_mov_b32_e32 v65, 0xab36
	s_waitcnt vmcnt(12)
	v_and_b32_e32 v8, 1, v8
	v_cmp_eq_u32_e32 vcc, 1, v8
	s_nop 1
	v_cndmask_b32_e32 v8, v67, v55, vcc
	v_add_u32_e32 v8, v8, v16
	scratch_load_dword v8, v8, off
	s_nop 0
	scratch_store_dwordx4 off, v[36:39], off
	scratch_store_dwordx4 off, v[44:47], off offset:1116 ; 16-byte Folded Spill
	scratch_store_dwordx4 off, v[44:47], off offset:16
	scratch_store_dwordx4 off, v[48:51], off offset:1132 ; 16-byte Folded Spill
	scratch_store_dwordx4 off, v[48:51], off offset:32
	;; [unrolled: 2-line block ×7, first 2 shown]
	scratch_store_dwordx4 off, v[68:71], off offset:128
	scratch_store_dwordx4 off, v[72:75], off offset:144
	;; [unrolled: 1-line block ×6, first 2 shown]
	v_mov_b32_e32 v49, 0xa6ef
	v_mov_b32_e32 v94, 0x52c1
	;; [unrolled: 1-line block ×25, first 2 shown]
	scratch_store_dwordx4 off, v[92:95], off offset:224
	scratch_store_dwordx4 off, v[96:99], off offset:240
	;; [unrolled: 1-line block ×16, first 2 shown]
	scratch_store_dword off, v10, off offset:480
	v_lshl_add_u32 v10, v53, 2, v67
	scratch_load_dword v10, v10, off
	s_nop 0
	scratch_load_dword v11, off, off offset:1228 ; 4-byte Folded Reload
	s_waitcnt vmcnt(0)
	v_cmp_ne_u32_e32 vcc, 0, v11
	s_and_saveexec_b64 s[34:35], vcc
	s_cbranch_execz .LBB0_24
; %bb.18:
	scratch_load_dword v59, off, off offset:1228 ; 4-byte Folded Reload
	v_min_i32_e32 v53, v0, v1
	v_min_i32_e32 v6, v6, v53
	v_readfirstlane_b32 s0, v55
	v_add3_u32 v3, v2, v53, v3
	v_add3_u32 v8, v8, v6, v10
	s_mov_b32 s33, s0
	s_mov_b64 s[36:37], 0
	s_mov_b32 s40, 0xaaaaaaab
	v_mov_b32_e32 v58, 0x1f0
	s_branch .LBB0_20
.LBB0_19:                               ;   in Loop: Header=BB0_20 Depth=1
	s_or_b64 exec, exec, s[38:39]
	v_mov_b64_e32 v[0:1], s[20:21]
	v_mov_b64_e32 v[2:3], s[22:23]
	;; [unrolled: 1-line block ×3, first 2 shown]
	v_add_u32_e32 v64, 0xfffff894, v57
	scratch_store_dwordx4 off, v[0:3], off
	scratch_store_dwordx4 off, v[0:3], off offset:16
	scratch_store_dwordx4 off, v[0:3], off offset:32
	;; [unrolled: 1-line block ×6, first 2 shown]
	scratch_store_byte off, v66, off offset:120
	scratch_store_dwordx2 off, v[24:25], off offset:112
	v_add_u32_e32 v13, 0, v64
	scratch_load_ubyte v6, v13, off
	v_mov_b64_e32 v[62:63], s[26:27]
	v_mov_b64_e32 v[60:61], s[24:25]
	scratch_store_dwordx4 off, v[60:63], off offset:512
	scratch_store_dwordx4 off, v[60:63], off offset:16
	v_mov_b32_e32 v8, v4
	v_mov_b32_e32 v10, v4
	v_mov_b64_e32 v[62:63], s[30:31]
	v_mov_b64_e32 v[60:61], s[28:29]
	v_mov_b32_e32 v11, v7
	scratch_store_dwordx4 off, v[60:63], off offset:528
	scratch_store_dwordx4 off, v[60:63], off offset:32
	v_mov_b32_e32 v36, v12
	v_mov_b32_e32 v51, v49
	s_waitcnt vmcnt(18)
	v_add_u32_e32 v59, -1, v59
	s_add_i32 s33, s33, 52
	s_waitcnt vmcnt(4)
	v_and_b32_e32 v6, 1, v6
	v_cmp_eq_u32_e32 vcc, 1, v6
	v_mov_b32_e32 v6, v4
	scratch_store_dwordx4 off, v[8:11], off offset:496
	scratch_store_dwordx4 off, v[4:7], off
	s_nop 0
	v_cndmask_b32_e32 v8, v67, v58, vcc
	v_lshl_add_u32 v6, v56, 2, -4
	v_add_u32_e32 v8, v8, v6
	scratch_load_dword v8, v8, off
	s_nop 0
	scratch_store_dwordx4 off, v[0:3], off
	scratch_store_dwordx4 off, v[0:3], off offset:16
	scratch_store_dwordx4 off, v[0:3], off offset:32
	;; [unrolled: 1-line block ×6, first 2 shown]
	scratch_store_dwordx2 off, v[24:25], off offset:112
	scratch_store_byte off, v66, off offset:120
	scratch_load_dwordx4 v[60:63], off, off offset:1084 ; 16-byte Folded Reload
	v_mov_b32_e32 v24, v12
	v_mov_b32_e32 v25, v4
	scratch_load_ubyte v0, v13, off
	v_mov_b32_e32 v13, v4
	scratch_store_dwordx4 off, v[24:27], off offset:496
	v_mov_b32_e32 v2, 0x16d
	v_lshl_add_u32 v1, v64, 2, v67
	v_mov_b32_e32 v3, v55
	s_waitcnt vmcnt(2)
	scratch_store_dwordx4 off, v[60:63], off offset:512
	scratch_load_dwordx4 v[60:63], off, off offset:1100 ; 16-byte Folded Reload
	s_waitcnt vmcnt(0)
	scratch_store_dwordx4 off, v[60:63], off offset:528
	scratch_store_dword off, v37, off offset:544
	scratch_store_dwordx4 off, v[12:15], off
	scratch_load_dwordx4 v[60:63], off, off offset:1052 ; 16-byte Folded Reload
	v_and_b32_e32 v0, 1, v0
	v_cmp_eq_u32_e32 vcc, 1, v0
	scratch_store_dword off, v2, off offset:48
	s_waitcnt vmcnt(1)
	scratch_store_dwordx4 off, v[60:63], off offset:16
	scratch_load_dwordx4 v[60:63], off, off offset:1068 ; 16-byte Folded Reload
	v_cndmask_b32_e32 v0, v67, v58, vcc
	v_add_u32_e32 v0, v0, v6
	v_min_i32_e32 v6, v8, v53
	v_cmp_eq_u32_e32 vcc, 0, v59
	s_or_b64 s[36:37], vcc, s[36:37]
	s_waitcnt vmcnt(0)
	scratch_store_dwordx4 off, v[60:63], off offset:32
	scratch_load_dwordx4 v[60:63], off, off offset:1116 ; 16-byte Folded Reload
	s_nop 0
	scratch_load_dword v0, v0, off
	s_nop 0
	scratch_store_dwordx4 off, v[36:39], off
	s_waitcnt vmcnt(2)
	scratch_store_dwordx4 off, v[60:63], off offset:16
	scratch_load_dwordx4 v[60:63], off, off offset:1132 ; 16-byte Folded Reload
	s_waitcnt vmcnt(0)
	scratch_store_dwordx4 off, v[60:63], off offset:32
	scratch_load_dwordx4 v[60:63], off, off offset:1148 ; 16-byte Folded Reload
	;; [unrolled: 3-line block ×6, first 2 shown]
	s_waitcnt vmcnt(0)
	scratch_store_dwordx4 off, v[60:63], off offset:112
	scratch_store_dwordx4 off, v[68:71], off offset:128
	;; [unrolled: 1-line block ×23, first 2 shown]
	scratch_store_dword off, v65, off offset:480
	scratch_load_dword v1, v1, off
	s_waitcnt vmcnt(0)
	v_add3_u32 v8, v0, v6, v1
	s_andn2_b64 exec, exec, s[36:37]
	s_cbranch_execz .LBB0_24
.LBB0_20:                               ; =>This Inner Loop Header: Depth=1
	v_mov_b32_e32 v2, v54
	v_mov_b32_e32 v1, v53
	;; [unrolled: 1-line block ×4, first 2 shown]
	s_add_i32 s0, s33, 16
	v_mov_b32_e32 v55, v8
	v_mov_b32_e32 v54, v57
	;; [unrolled: 1-line block ×3, first 2 shown]
	scratch_store_dwordx4 off, v[0:3], s0
	s_add_i32 s0, s33, 32
	v_add_u32_e32 v56, 6, v52
	scratch_store_dwordx4 off, v[52:55], s0
	s_add_i32 s0, s33, 48
	v_mov_b32_e32 v0, -1.0
	v_cmp_lt_i32_e32 vcc, 12, v56
	scratch_store_dwordx4 off, v[52:55], s33
	scratch_store_dword off, v0, s0
	s_and_saveexec_b64 s[0:1], vcc
; %bb.21:                               ;   in Loop: Header=BB0_20 Depth=1
	v_sub_u32_e64 v0, v56, 24 clamp
	v_add_u32_e32 v0, 11, v0
	v_mul_hi_u32 v0, v0, s40
	v_lshrrev_b32_e32 v0, 3, v0
	v_mul_lo_u32 v1, v0, -12
	v_add3_u32 v56, v52, v1, -6
	v_add3_u32 v57, v54, v0, 1
; %bb.22:                               ;   in Loop: Header=BB0_20 Depth=1
	s_or_b64 exec, exec, s[0:1]
	v_cmp_gt_i32_e32 vcc, 1, v56
	s_and_saveexec_b64 s[38:39], vcc
	s_cbranch_execz .LBB0_19
; %bb.23:                               ;   in Loop: Header=BB0_20 Depth=1
	v_max_i32_e32 v0, -11, v56
	v_cmp_gt_i32_e32 vcc, -11, v56
	s_nop 1
	v_subb_co_u32_e64 v0, s[0:1], v0, v56, vcc
	v_mul_hi_u32 v0, v0, s40
	v_lshrrev_b32_e32 v0, 3, v0
	v_addc_co_u32_e32 v0, vcc, 0, v0, vcc
	v_mul_lo_u32 v1, v0, 12
	v_add3_u32 v56, v56, v1, 12
	v_xad_u32 v57, v0, -1, v57
	s_branch .LBB0_19
.LBB0_24:
	s_or_b64 exec, exec, s[34:35]
	scratch_load_dwordx2 v[12:13], off, off offset:1244 ; 8-byte Folded Reload
	scratch_load_dwordx2 v[8:9], off, off offset:1044 ; 8-byte Folded Reload
	v_mov_b32_e32 v0, s4
	v_mov_b32_e32 v1, s5
	;; [unrolled: 1-line block ×4, first 2 shown]
	s_waitcnt vmcnt(1)
	v_lshl_add_u64 v[14:15], v[12:13], 4, v[0:1]
	s_waitcnt vmcnt(0)
	global_load_dwordx4 v[4:7], v[8:9], off offset:16
	global_load_dwordx4 v[0:3], v[14:15], off
	s_nop 0
	global_load_dword v9, v[8:9], off offset:12
	v_lshl_add_u64 v[10:11], v[12:13], 2, v[10:11]
	scratch_load_dword v56, off, off offset:1228 ; 4-byte Folded Reload
	global_load_dword v23, v[10:11], off
	v_mov_b32_e32 v8, 0x230
	v_mov_b32_e32 v12, 0x42c80000
	s_waitcnt vmcnt(2)
	v_cmp_gt_i32_e32 vcc, v9, v3
	s_waitcnt vmcnt(1)
	v_mad_u64_u32 v[10:11], s[0:1], v56, 52, v[8:9]
	scratch_store_dword v10, v12, off offset:48
	scratch_store_dwordx4 v10, v[4:7], off
	scratch_store_dwordx4 v10, v[0:3], off offset:16
	scratch_store_dwordx4 v10, v[0:3], off offset:32
	v_mov_b32_e32 v6, v2
	v_mov_b32_e32 v7, v3
	v_mov_b64_e32 v[4:5], v[0:1]
	s_and_saveexec_b64 s[0:1], vcc
	s_cbranch_execz .LBB0_26
; %bb.25:
	scratch_load_dwordx2 v[4:5], off, off offset:1044 ; 8-byte Folded Reload
	v_mov_b32_e32 v7, v9
	s_waitcnt vmcnt(0)
	global_load_dwordx3 v[4:6], v[4:5], off
.LBB0_26:
	s_or_b64 exec, exec, s[0:1]
	v_or_b32_e32 v20, 12, v8
	v_add_u32_e32 v21, 1, v56
	s_mov_b32 s8, 0
	s_mov_b64 s[0:1], 0
	v_mov_b32_e32 v8, v20
                                        ; implicit-def: $sgpr2_sgpr3
	s_branch .LBB0_28
.LBB0_27:                               ;   in Loop: Header=BB0_28 Depth=1
	s_or_b64 exec, exec, s[4:5]
	s_and_b64 s[4:5], exec, s[2:3]
	s_or_b64 s[0:1], s[4:5], s[0:1]
	s_andn2_b64 exec, exec, s[0:1]
	s_cbranch_execz .LBB0_30
.LBB0_28:                               ; =>This Inner Loop Header: Depth=1
	scratch_load_dword v9, v8, off
	v_mov_b32_e32 v16, s8
	s_or_b64 s[2:3], s[2:3], exec
	s_waitcnt vmcnt(0)
	v_cmp_lt_i32_e32 vcc, v9, v7
	s_and_saveexec_b64 s[4:5], vcc
	s_cbranch_execz .LBB0_27
; %bb.29:                               ;   in Loop: Header=BB0_28 Depth=1
	s_add_i32 s8, s8, 1
	v_cmp_eq_u32_e32 vcc, s8, v21
	s_andn2_b64 s[2:3], s[2:3], exec
	s_and_b64 s[20:21], vcc, exec
	v_add_u32_e32 v8, 52, v8
	s_or_b64 s[2:3], s[2:3], s[20:21]
	v_mov_b32_e32 v16, v56
	s_branch .LBB0_27
.LBB0_30:
	s_or_b64 exec, exec, s[0:1]
	scratch_load_dwordx2 v[8:9], off, off offset:1244 ; 8-byte Folded Reload
	v_cmp_le_u32_e32 vcc, v16, v56
                                        ; implicit-def: $vgpr11
	s_waitcnt vmcnt(0)
	v_lshl_add_u64 v[12:13], v[8:9], 4, s[6:7]
	s_and_saveexec_b64 s[0:1], vcc
	s_xor_b64 s[2:3], exec, s[0:1]
	s_cbranch_execz .LBB0_38
; %bb.31:
	v_mov_b32_e32 v10, 0x230
	v_mad_u64_u32 v[10:11], s[0:1], v16, 52, v[10:11]
	v_lshl_add_u64 v[8:9], v[12:13], 0, 12
	v_add_u32_e32 v16, -1, v16
	s_mov_b64 s[4:5], 0
	v_mov_b32_e32 v11, 0
	s_movk_i32 s20, 0x168
	s_mov_b32 s21, 0x43b40000
	s_branch .LBB0_34
.LBB0_32:                               ;   in Loop: Header=BB0_34 Depth=1
	s_or_b64 exec, exec, s[8:9]
.LBB0_33:                               ;   in Loop: Header=BB0_34 Depth=1
	s_or_b64 exec, exec, s[6:7]
	v_add_u32_e32 v16, 1, v16
	v_cmp_ge_u32_e32 vcc, v16, v56
	v_add_f32_e32 v11, v11, v17
	s_or_b64 s[4:5], vcc, s[4:5]
	v_add_u32_e32 v10, 52, v10
	s_andn2_b64 exec, exec, s[4:5]
	s_cbranch_execz .LBB0_37
.LBB0_34:                               ; =>This Inner Loop Header: Depth=1
	v_add_u32_e32 v17, 28, v10
	scratch_load_dword v17, v17, off
	s_waitcnt vmcnt(0)
	v_cmp_lt_i32_e32 vcc, v17, v7
	v_mov_b32_e32 v17, 0
	s_and_saveexec_b64 s[6:7], vcc
	s_cbranch_execz .LBB0_33
; %bb.35:                               ;   in Loop: Header=BB0_34 Depth=1
	global_load_dword v17, v[8:9], off
	s_waitcnt vmcnt(0)
	v_cmp_ge_i32_e32 vcc, v17, v7
	v_mov_b32_e32 v17, 0
	s_and_saveexec_b64 s[8:9], vcc
	s_cbranch_execz .LBB0_32
; %bb.36:                               ;   in Loop: Header=BB0_34 Depth=1
	v_add_u32_e32 v17, 32, v10
	scratch_load_dwordx4 v[24:27], v17, off
	v_add_u32_e32 v17, 16, v10
	scratch_load_dwordx3 v[28:30], v17, off
	s_waitcnt vmcnt(1)
	v_cmp_gt_i32_e32 vcc, v27, v7
	s_nop 1
	v_cndmask_b32_e32 v22, v25, v5, vcc
	v_cndmask_b32_e32 v17, v24, v4, vcc
	s_waitcnt vmcnt(0)
	v_cmp_gt_i32_e64 s[0:1], 30, v29
	v_sub_u32_e32 v18, 30, v29
	v_cndmask_b32_e32 v24, v26, v6, vcc
	v_cmp_eq_u32_e32 vcc, 31, v22
	v_not_b32_e32 v19, v28
	v_max_i32_e32 v18, 0, v18
	v_sub_u32_e32 v24, v24, v30
	s_and_b64 vcc, vcc, s[0:1]
	v_min_i32_e32 v22, 30, v22
	v_addc_co_u32_e64 v17, s[0:1], v17, v19, vcc
	v_mad_u64_u32 v[18:19], s[0:1], v24, s20, v[18:19]
	v_mul_lo_u32 v17, v17, 30
	v_cndmask_b32_e64 v19, v22, 1, vcc
	v_add3_u32 v17, v18, v19, v17
	v_cvt_f32_i32_e32 v17, v17
	v_div_scale_f32 v18, s[0:1], s21, s21, v17
	v_rcp_f32_e32 v19, v18
	v_div_scale_f32 v22, vcc, v17, s21, v17
	v_fma_f32 v24, -v18, v19, 1.0
	v_fmac_f32_e32 v19, v24, v19
	v_mul_f32_e32 v24, v22, v19
	v_fma_f32 v25, -v18, v24, v22
	v_fmac_f32_e32 v24, v25, v19
	v_fma_f32 v18, -v18, v24, v22
	v_div_fmas_f32 v18, v18, v19, v24
	v_div_fixup_f32 v17, v18, s21, v17
	scratch_load_dword v18, off, off offset:1028 ; 4-byte Folded Reload
	s_waitcnt vmcnt(0)
	v_fma_f32 v17, v18, v17, 1.0
	v_add_f32_e32 v17, -1.0, v17
	v_mul_f32_e32 v17, 0x42c80000, v17
	s_branch .LBB0_32
.LBB0_37:
	s_or_b64 exec, exec, s[4:5]
	v_mul_f32_e32 v11, 0x42c80000, v11
.LBB0_38:
	s_andn2_saveexec_b64 s[0:1], s[2:3]
; %bb.39:
	v_mov_b32_e32 v11, 0
; %bb.40:
	s_or_b64 exec, exec, s[0:1]
	v_not_b32_e32 v22, v4
	v_sub_u32_e32 v4, 30, v5
	v_cmp_gt_i32_e64 s[0:1], 30, v5
	s_mov_b32 s22, 0
	v_max_i32_e32 v4, 0, v4
	s_mov_b64 s[4:5], -1
	s_mov_b32 s23, -1
	s_mov_b64 s[6:7], 0
	v_mov_b32_e32 v24, 0
	v_mov_b32_e32 v5, 1.0
	v_mov_b32_e32 v25, 0x230
	s_movk_i32 s24, 0x168
	s_mov_b32 s25, 0x43b40000
	s_mov_b32 s26, 0x3f2aaaab
	v_mov_b32_e32 v26, 0x3e91f4c4
	s_mov_b32 s27, 0x3f317218
	s_movk_i32 s28, 0x204
	s_mov_b32 s29, 0x7f800000
	s_mov_b32 s30, 0x42b17218
	;; [unrolled: 1-line block ×4, first 2 shown]
	v_mov_b32_e32 v27, 0x3f833333
	v_mov_b32_e32 v28, 0x37000000
	;; [unrolled: 1-line block ×3, first 2 shown]
                                        ; implicit-def: $vgpr8
                                        ; implicit-def: $vgpr31
                                        ; implicit-def: $vgpr18_vgpr19
	s_branch .LBB0_43
.LBB0_41:                               ;   in Loop: Header=BB0_43 Depth=1
	s_or_b64 exec, exec, s[2:3]
	v_cvt_f32_i32_e32 v9, v32
	s_andn2_b64 s[4:5], s[4:5], exec
	v_div_scale_f32 v10, s[2:3], s25, s25, v9
	v_rcp_f32_e32 v18, v10
	v_div_scale_f32 v19, vcc, v9, s25, v9
	v_fma_f32 v31, -v10, v18, 1.0
	v_fmac_f32_e32 v18, v31, v18
	v_mul_f32_e32 v31, v19, v18
	v_fma_f32 v32, -v10, v31, v19
	v_fmac_f32_e32 v31, v32, v18
	v_fma_f32 v10, -v10, v31, v19
	v_div_fmas_f32 v10, v10, v18, v31
	v_div_fixup_f32 v9, v10, s25, v9
	v_add_f32_e32 v31, v9, v9
	v_cmp_eq_f32_e32 vcc, 0, v31
	s_nop 1
	v_cndmask_b32_e64 v9, v27, 1.0, vcc
	v_frexp_mant_f32_e32 v10, v9
	v_cmp_gt_f32_e64 s[2:3], s26, v10
	s_nop 1
	v_cndmask_b32_e64 v18, 1.0, 2.0, s[2:3]
	v_mul_f32_e32 v10, v10, v18
	v_add_f32_e32 v18, 1.0, v10
	v_rcp_f32_e32 v38, v18
	v_add_f32_e32 v19, -1.0, v10
	v_add_f32_e32 v32, -1.0, v18
	v_sub_f32_e32 v10, v10, v32
	v_mul_f32_e32 v39, v19, v38
	v_mul_f32_e32 v32, v18, v39
	v_fma_f32 v34, v39, v18, -v32
	v_fmac_f32_e32 v34, v39, v10
	v_add_f32_e32 v18, v32, v34
	v_sub_f32_e32 v33, v19, v18
	v_pk_add_f32 v[36:37], v[18:19], v[32:33] neg_lo:[0,1] neg_hi:[0,1]
	v_mov_b32_e32 v35, v18
	v_pk_add_f32 v[18:19], v[36:37], v[34:35] neg_lo:[0,1] neg_hi:[0,1]
	s_nop 0
	v_add_f32_e32 v10, v18, v19
	v_add_f32_e32 v10, v33, v10
	v_mul_f32_e32 v10, v38, v10
	v_add_f32_e32 v18, v39, v10
	v_sub_f32_e32 v19, v18, v39
	v_sub_f32_e32 v40, v10, v19
	v_mul_f32_e32 v10, v18, v18
	v_fma_f32 v19, v18, v18, -v10
	v_add_f32_e32 v32, v40, v40
	v_fmac_f32_e32 v19, v18, v32
	v_add_f32_e32 v32, v10, v19
	v_fmamk_f32 v33, v32, 0x3e76c4e1, v26
	v_fmaak_f32 v33, v32, v33, 0x3ecccdef
	v_sub_f32_e32 v10, v32, v10
	v_sub_f32_e32 v10, v19, v10
	v_mul_f32_e32 v19, v32, v33
	v_fma_f32 v34, v32, v33, -v19
	v_fmac_f32_e32 v34, v10, v33
	v_add_f32_e32 v33, v19, v34
	v_add_f32_e32 v35, 0x3f2aaaaa, v33
	v_sub_f32_e32 v19, v33, v19
	v_sub_f32_e32 v19, v34, v19
	v_add_f32_e32 v34, 0xbf2aaaaa, v35
	v_add_f32_e32 v19, 0x31739010, v19
	v_sub_f32_e32 v33, v33, v34
	v_pk_mul_f32 v[36:37], v[18:19], v[32:33]
	v_pk_add_f32 v[38:39], v[18:19], v[32:33]
	v_fma_f32 v34, v32, v18, -v36
	v_fmac_f32_e32 v34, v32, v40
	v_mov_b32_e32 v37, v39
	v_fmac_f32_e32 v34, v10, v18
	v_pk_add_f32 v[32:33], v[36:37], v[34:35]
	s_nop 0
	v_sub_f32_e32 v10, v32, v36
	v_cvt_f64_f32_e32 v[36:37], v9
	v_frexp_exp_i32_f64_e32 v9, v[36:37]
	v_subbrev_co_u32_e64 v9, s[2:3], 0, v9, s[2:3]
	v_sub_f32_e32 v19, v34, v10
	v_sub_f32_e32 v10, v35, v33
	v_cvt_f32_i32_e32 v9, v9
	v_add_f32_e32 v38, v39, v10
	v_mov_b32_e32 v10, v33
	v_pk_mul_f32 v[34:35], v[32:33], v[10:11]
	v_ldexp_f32 v39, v18, 1
	v_fma_f32 v36, v32, v33, -v34
	v_fmac_f32_e32 v36, v32, v38
	v_mul_f32_e32 v32, 0x3f317218, v9
	v_fmac_f32_e32 v36, v19, v33
	v_fma_f32 v38, v9, s27, -v32
	v_fmac_f32_e32 v38, 0xb102e308, v9
	v_add_f32_e32 v33, v34, v36
	v_pk_add_f32 v[18:19], v[32:33], v[38:39]
	v_ldexp_f32 v9, v40, 1
	v_mov_b32_e32 v40, v33
	v_mov_b32_e32 v41, v19
	;; [unrolled: 1-line block ×3, first 2 shown]
	v_pk_add_f32 v[34:35], v[40:41], v[34:35] neg_lo:[0,1] neg_hi:[0,1]
	v_mov_b32_e32 v37, v33
	v_pk_add_f32 v[34:35], v[36:37], v[34:35] neg_lo:[0,1] neg_hi:[0,1]
	v_mov_b32_e32 v39, v18
	v_add_f32_e32 v9, v9, v34
	v_add_f32_e32 v33, v9, v35
	v_pk_add_f32 v[34:35], v[18:19], v[32:33] neg_lo:[0,1] neg_hi:[0,1]
	v_pk_add_f32 v[36:37], v[18:19], v[32:33]
	v_mov_b32_e32 v40, v34
	v_mov_b32_e32 v41, v37
	v_pk_add_f32 v[40:41], v[38:39], v[40:41]
	v_pk_add_f32 v[34:35], v[38:39], v[34:35] neg_lo:[0,1] neg_hi:[0,1]
	v_mov_b32_e32 v10, v41
	v_pk_add_f32 v[42:43], v[10:11], v[18:19] neg_lo:[0,1] neg_hi:[0,1]
	v_mov_b32_e32 v40, v37
	v_mov_b32_e32 v9, v42
	;; [unrolled: 1-line block ×4, first 2 shown]
	v_pk_add_f32 v[44:45], v[36:37], v[8:9] neg_lo:[0,1] neg_hi:[0,1]
	v_pk_add_f32 v[18:19], v[40:41], v[18:19] neg_lo:[0,1] neg_hi:[0,1]
	v_mov_b32_e32 v38, v33
	v_pk_add_f32 v[18:19], v[38:39], v[18:19] neg_lo:[0,1] neg_hi:[0,1]
	v_mov_b32_e32 v44, v34
	v_pk_add_f32 v[32:33], v[44:45], v[18:19]
	v_mov_b32_e32 v35, v41
	v_mov_b32_e32 v36, v33
	v_pk_add_f32 v[36:37], v[32:33], v[36:37]
	s_nop 0
	v_pk_add_f32 v[38:39], v[10:11], v[36:37]
	v_mov_b32_e32 v19, v36
	v_mov_b32_e32 v33, v38
	v_pk_add_f32 v[40:41], v[32:33], v[34:35] neg_lo:[0,1] neg_hi:[0,1]
	s_nop 0
	v_sub_f32_e32 v9, v32, v40
	v_pk_add_f32 v[18:19], v[18:19], v[40:41] neg_lo:[0,1] neg_hi:[0,1]
	v_sub_f32_e32 v9, v34, v9
	v_add_f32_e32 v9, v18, v9
	v_add_f32_e32 v9, v9, v19
	;; [unrolled: 1-line block ×3, first 2 shown]
	v_sub_f32_e32 v18, v10, v38
	v_sub_f32_e32 v9, v9, v18
	v_mul_f32_e32 v18, v31, v10
	v_fma_f32 v10, v31, v10, -v18
	v_fmac_f32_e32 v10, v31, v9
	v_add_f32_e32 v9, v18, v10
	v_cmp_class_f32_e64 s[2:3], v18, s28
	v_sub_f32_e32 v19, v9, v18
	v_sub_f32_e32 v10, v10, v19
	v_cndmask_b32_e64 v9, v9, v18, s[2:3]
	v_cmp_eq_f32_e64 s[2:3], s30, v9
	s_nop 1
	v_cndmask_b32_e64 v18, 0, v28, s[2:3]
	v_sub_f32_e32 v19, v9, v18
	v_mul_f32_e32 v32, 0x3fb8aa3b, v19
	v_fma_f32 v33, v19, s31, -v32
	v_rndne_f32_e32 v34, v32
	v_fmac_f32_e32 v33, 0x32a5705f, v19
	v_sub_f32_e32 v32, v32, v34
	v_add_f32_e32 v32, v32, v33
	v_exp_f32_e32 v32, v32
	v_cvt_i32_f32_e32 v33, v34
	v_cmp_neq_f32_e64 s[2:3], |v9|, s29
	s_nop 1
	v_cndmask_b32_e64 v9, 0, v10, s[2:3]
	v_ldexp_f32 v10, v32, v33
	v_cmp_ngt_f32_e64 s[2:3], s33, v19
	v_add_f32_e32 v9, v18, v9
	s_nop 0
	v_cndmask_b32_e64 v10, 0, v10, s[2:3]
	v_cmp_nlt_f32_e64 s[2:3], s30, v19
	s_nop 1
	v_cndmask_b32_e64 v10, v29, v10, s[2:3]
	v_fma_f32 v9, v10, v9, v10
	v_cmp_class_f32_e64 s[2:3], v10, s28
	s_nop 1
	v_cndmask_b32_e64 v9, v9, v10, s[2:3]
	v_cmp_eq_f32_e64 s[2:3], v31, |v31|
	s_nop 1
	v_cndmask_b32_e64 v10, 0, |v31|, s[2:3]
	v_cndmask_b32_e64 v10, v10, 1.0, vcc
	v_cmp_class_f32_e64 s[2:3], v31, s28
	s_nop 1
	v_cndmask_b32_e64 v9, |v9|, v10, s[2:3]
	v_div_scale_f32 v10, s[2:3], v9, v9, 1.0
	v_rcp_f32_e32 v18, v10
	s_nop 0
	v_fma_f32 v19, -v10, v18, 1.0
	v_fmac_f32_e32 v18, v19, v18
	v_div_scale_f32 v19, vcc, 1.0, v9, 1.0
	v_mul_f32_e32 v31, v19, v18
	v_fma_f32 v32, -v10, v31, v19
	v_fmac_f32_e32 v31, v32, v18
	v_fma_f32 v10, -v10, v31, v19
	v_div_fmas_f32 v10, v10, v18, v31
	v_div_fixup_f32 v9, v10, v9, 1.0
	v_mul_f32_e32 v5, v5, v9
	v_fmac_f32_e32 v24, v30, v5
	v_mov_b64_e32 v[18:19], v[16:17]
	v_mov_b32_e32 v31, v8
.LBB0_42:                               ;   in Loop: Header=BB0_43 Depth=1
	s_or_b64 exec, exec, s[8:9]
	s_add_i32 s23, s23, 1
	s_add_i32 s22, s22, 52
	v_cmp_eq_u32_e32 vcc, s23, v56
	s_or_b64 s[6:7], vcc, s[6:7]
	s_andn2_b64 exec, exec, s[6:7]
	s_cbranch_execz .LBB0_50
.LBB0_43:                               ; =>This Inner Loop Header: Depth=1
	v_readfirstlane_b32 s2, v25
	s_add_i32 s2, s2, s22
	s_add_i32 s3, s2, 12
	scratch_load_dword v8, off, s3
	s_waitcnt vmcnt(0)
	v_cmp_ge_i32_e32 vcc, v8, v7
	s_and_saveexec_b64 s[8:9], vcc
	s_cbranch_execz .LBB0_42
; %bb.44:                               ;   in Loop: Header=BB0_43 Depth=1
	s_add_i32 s3, s2, 48
	scratch_load_dword v30, off, s3
	scratch_load_dwordx3 v[8:10], off, s2
	s_waitcnt vmcnt(1)
	v_cmp_eq_f32_e32 vcc, -1.0, v30
	s_and_saveexec_b64 s[20:21], vcc
	s_cbranch_execz .LBB0_46
; %bb.45:                               ;   in Loop: Header=BB0_43 Depth=1
	s_add_i32 s3, s2, 32
	s_add_i32 s2, s2, 16
	scratch_load_dwordx3 v[32:34], off, s3
	scratch_load_dwordx3 v[36:38], off, s2
	s_waitcnt vmcnt(1)
	v_cmp_eq_u32_e32 vcc, 31, v33
	s_waitcnt vmcnt(0)
	v_cmp_gt_i32_e64 s[2:3], 30, v37
	v_min_i32_e32 v17, 30, v33
	v_not_b32_e32 v16, v36
	v_sub_u32_e32 v33, 30, v37
	s_and_b64 vcc, vcc, s[2:3]
	v_sub_u32_e32 v30, v34, v38
	v_addc_co_u32_e64 v32, s[2:3], v32, v16, vcc
	v_max_i32_e32 v16, 0, v33
	v_mul_lo_u32 v32, v32, 30
	v_cndmask_b32_e64 v33, v17, 1, vcc
	v_mad_u64_u32 v[16:17], s[2:3], v30, s24, v[16:17]
	v_add3_u32 v16, v16, v33, v32
	v_cvt_f32_i32_e32 v16, v16
	v_div_scale_f32 v17, s[2:3], s25, s25, v16
	v_rcp_f32_e32 v30, v17
	v_div_scale_f32 v32, vcc, v16, s25, v16
	v_fma_f32 v33, -v17, v30, 1.0
	v_fmac_f32_e32 v30, v33, v30
	v_mul_f32_e32 v33, v32, v30
	v_fma_f32 v34, -v17, v33, v32
	v_fmac_f32_e32 v33, v34, v30
	v_fma_f32 v17, -v17, v33, v32
	v_div_fmas_f32 v17, v17, v30, v33
	v_div_fixup_f32 v16, v17, s25, v16
	scratch_load_dword v17, off, off offset:1028 ; 4-byte Folded Reload
	s_waitcnt vmcnt(0)
	v_fma_f32 v16, v17, v16, 1.0
	v_add_f32_e32 v16, -1.0, v16
	v_mul_f32_e32 v30, 0x42c80000, v16
.LBB0_46:                               ;   in Loop: Header=BB0_43 Depth=1
	s_or_b64 exec, exec, s[20:21]
	s_xor_b64 s[2:3], s[4:5], -1
	s_waitcnt vmcnt(0)
	v_mov_b32_e32 v16, v9
	v_mov_b32_e32 v17, v10
	v_cmp_eq_u32_e32 vcc, 31, v9
	v_min_i32_e32 v9, 30, v9
                                        ; implicit-def: $vgpr32
	s_and_saveexec_b64 s[20:21], s[2:3]
	s_xor_b64 s[20:21], exec, s[20:21]
	s_cbranch_execz .LBB0_48
; %bb.47:                               ;   in Loop: Header=BB0_43 Depth=1
	v_cmp_gt_i32_e64 s[2:3], 30, v18
	s_and_b64 s[2:3], vcc, s[2:3]
	v_not_b32_e32 v31, v31
	v_cndmask_b32_e64 v32, 0, 1, s[2:3]
	v_sub_u32_e32 v18, 30, v18
	v_sub_u32_e32 v19, v10, v19
	v_add3_u32 v31, v8, v31, v32
	v_max_i32_e32 v18, 0, v18
	v_mul_lo_u32 v31, v31, 30
	v_cndmask_b32_e64 v9, v9, 1, s[2:3]
	v_mad_u64_u32 v[18:19], s[2:3], v19, s24, v[18:19]
	v_add3_u32 v32, v18, v9, v31
                                        ; implicit-def: $vgpr9
.LBB0_48:                               ;   in Loop: Header=BB0_43 Depth=1
	s_andn2_saveexec_b64 s[2:3], s[20:21]
	s_cbranch_execz .LBB0_41
; %bb.49:                               ;   in Loop: Header=BB0_43 Depth=1
	s_and_b64 s[20:21], vcc, s[0:1]
	v_cndmask_b32_e64 v18, 0, 1, s[20:21]
	v_sub_u32_e32 v10, v10, v6
	v_add3_u32 v18, v8, v22, v18
	v_mul_lo_u32 v31, v18, 30
	v_cndmask_b32_e64 v9, v9, 1, s[20:21]
	v_mad_u64_u32 v[18:19], s[20:21], v10, s24, v[4:5]
	v_add3_u32 v32, v18, v9, v31
	s_branch .LBB0_41
.LBB0_50:
	s_or_b64 exec, exec, s[6:7]
	s_mov_b32 s4, 0x42c80000
	v_div_scale_f32 v5, s[2:3], s4, s4, v11
	v_rcp_f32_e32 v8, v5
	v_div_scale_f32 v9, vcc, v11, s4, v11
	s_mov_b32 s2, 0x2441b0da
	v_fma_f32 v10, -v5, v8, 1.0
	v_fmac_f32_e32 v8, v10, v8
	v_mul_f32_e32 v10, v9, v8
	v_fma_f32 v16, -v5, v10, v9
	v_fmac_f32_e32 v10, v16, v8
	v_fma_f32 v5, -v5, v10, v9
	v_div_fmas_f32 v5, v5, v8, v10
	v_div_fixup_f32 v5, v5, s4, v11
	v_add_f32_e32 v5, v23, v5
	v_sub_f32_e32 v35, v5, v24
	v_mul_f32_e64 v8, |v35|, s2
	v_cmp_nle_f32_e64 s[2:3], |v35|, v8
	v_cmp_neq_f32_e32 vcc, 0, v35
	s_or_b64 s[2:3], vcc, s[2:3]
	v_mov_b32_e32 v18, 0x3d4ccccd
	s_and_saveexec_b64 s[20:21], s[2:3]
	s_cbranch_execz .LBB0_174
; %bb.51:
	s_movk_i32 s24, 0x230
	s_mov_b64 s[4:5], -1
	s_mov_b32 s25, -1
	s_mov_b64 s[6:7], 0
	v_mov_b32_e32 v11, 0
	v_mov_b32_e32 v23, 1.0
	s_movk_i32 s26, 0x168
	s_mov_b32 s27, 0x43b40000
	s_mov_b32 s28, 0x3f2aaaab
	v_mov_b32_e32 v24, 0x3e91f4c4
	s_mov_b32 s29, 0x3f317218
	s_movk_i32 s30, 0x204
	s_mov_b32 s31, 0x7f800000
	s_mov_b32 s33, 0x42b17218
	;; [unrolled: 1-line block ×4, first 2 shown]
	v_mov_b32_e32 v25, 0x3f83851f
	v_mov_b32_e32 v26, 0x37000000
	;; [unrolled: 1-line block ×3, first 2 shown]
                                        ; implicit-def: $vgpr8
                                        ; implicit-def: $vgpr29
                                        ; implicit-def: $vgpr18_vgpr19
	s_branch .LBB0_54
.LBB0_52:                               ;   in Loop: Header=BB0_54 Depth=1
	s_or_b64 exec, exec, s[2:3]
	v_cvt_f32_i32_e32 v9, v30
	s_andn2_b64 s[4:5], s[4:5], exec
	v_div_scale_f32 v10, s[2:3], s27, s27, v9
	v_rcp_f32_e32 v18, v10
	v_div_scale_f32 v19, vcc, v9, s27, v9
	v_fma_f32 v29, -v10, v18, 1.0
	v_fmac_f32_e32 v18, v29, v18
	v_mul_f32_e32 v29, v19, v18
	v_fma_f32 v30, -v10, v29, v19
	v_fmac_f32_e32 v29, v30, v18
	v_fma_f32 v10, -v10, v29, v19
	v_div_fmas_f32 v10, v10, v18, v29
	v_div_fixup_f32 v9, v10, s27, v9
	v_add_f32_e32 v29, v9, v9
	v_cmp_eq_f32_e32 vcc, 0, v29
	s_nop 1
	v_cndmask_b32_e64 v9, v25, 1.0, vcc
	v_frexp_mant_f32_e32 v10, v9
	v_cmp_gt_f32_e64 s[2:3], s28, v10
	s_nop 1
	v_cndmask_b32_e64 v18, 1.0, 2.0, s[2:3]
	v_mul_f32_e32 v10, v10, v18
	v_add_f32_e32 v18, 1.0, v10
	v_rcp_f32_e32 v34, v18
	v_add_f32_e32 v19, -1.0, v10
	v_add_f32_e32 v30, -1.0, v18
	v_sub_f32_e32 v10, v10, v30
	v_mul_f32_e32 v38, v19, v34
	v_mul_f32_e32 v30, v18, v38
	v_fma_f32 v32, v38, v18, -v30
	v_fmac_f32_e32 v32, v38, v10
	v_add_f32_e32 v18, v30, v32
	v_sub_f32_e32 v31, v19, v18
	v_pk_add_f32 v[36:37], v[18:19], v[30:31] neg_lo:[0,1] neg_hi:[0,1]
	v_mov_b32_e32 v33, v18
	v_pk_add_f32 v[18:19], v[36:37], v[32:33] neg_lo:[0,1] neg_hi:[0,1]
	s_nop 0
	v_add_f32_e32 v10, v18, v19
	v_add_f32_e32 v10, v31, v10
	v_mul_f32_e32 v10, v34, v10
	v_add_f32_e32 v18, v38, v10
	v_sub_f32_e32 v19, v18, v38
	v_sub_f32_e32 v34, v10, v19
	v_mul_f32_e32 v10, v18, v18
	v_fma_f32 v19, v18, v18, -v10
	v_add_f32_e32 v30, v34, v34
	v_fmac_f32_e32 v19, v18, v30
	v_add_f32_e32 v30, v10, v19
	v_fmamk_f32 v31, v30, 0x3e76c4e1, v24
	v_fmaak_f32 v31, v30, v31, 0x3ecccdef
	v_sub_f32_e32 v10, v30, v10
	v_sub_f32_e32 v10, v19, v10
	v_mul_f32_e32 v19, v30, v31
	v_fma_f32 v32, v30, v31, -v19
	v_fmac_f32_e32 v32, v10, v31
	v_add_f32_e32 v31, v19, v32
	v_add_f32_e32 v33, 0x3f2aaaaa, v31
	v_sub_f32_e32 v19, v31, v19
	v_sub_f32_e32 v19, v32, v19
	v_add_f32_e32 v32, 0xbf2aaaaa, v33
	v_add_f32_e32 v19, 0x31739010, v19
	v_sub_f32_e32 v31, v31, v32
	v_pk_mul_f32 v[36:37], v[18:19], v[30:31]
	v_pk_add_f32 v[38:39], v[18:19], v[30:31]
	v_fma_f32 v32, v30, v18, -v36
	v_fmac_f32_e32 v32, v30, v34
	v_mov_b32_e32 v37, v39
	v_fmac_f32_e32 v32, v10, v18
	v_pk_add_f32 v[30:31], v[36:37], v[32:33]
	s_nop 0
	v_sub_f32_e32 v10, v30, v36
	v_cvt_f64_f32_e32 v[36:37], v9
	v_frexp_exp_i32_f64_e32 v9, v[36:37]
	v_subbrev_co_u32_e64 v9, s[2:3], 0, v9, s[2:3]
	v_sub_f32_e32 v19, v32, v10
	v_sub_f32_e32 v10, v33, v31
	v_cvt_f32_i32_e32 v9, v9
	v_add_f32_e32 v38, v39, v10
	v_mov_b32_e32 v10, v31
	v_pk_mul_f32 v[32:33], v[30:31], v[10:11]
	v_ldexp_f32 v39, v18, 1
	v_fma_f32 v36, v30, v31, -v32
	v_fmac_f32_e32 v36, v30, v38
	v_mul_f32_e32 v30, 0x3f317218, v9
	v_fmac_f32_e32 v36, v19, v31
	v_fma_f32 v38, v9, s29, -v30
	v_fmac_f32_e32 v38, 0xb102e308, v9
	v_add_f32_e32 v31, v32, v36
	v_pk_add_f32 v[18:19], v[30:31], v[38:39]
	v_mov_b32_e32 v40, v31
	v_mov_b32_e32 v41, v19
	;; [unrolled: 1-line block ×3, first 2 shown]
	v_pk_add_f32 v[32:33], v[40:41], v[32:33] neg_lo:[0,1] neg_hi:[0,1]
	v_mov_b32_e32 v37, v31
	v_ldexp_f32 v9, v34, 1
	v_pk_add_f32 v[32:33], v[36:37], v[32:33] neg_lo:[0,1] neg_hi:[0,1]
	v_mov_b32_e32 v39, v18
	v_add_f32_e32 v9, v9, v32
	v_add_f32_e32 v31, v9, v33
	v_pk_add_f32 v[32:33], v[18:19], v[30:31] neg_lo:[0,1] neg_hi:[0,1]
	v_pk_add_f32 v[36:37], v[18:19], v[30:31]
	v_mov_b32_e32 v40, v32
	v_mov_b32_e32 v41, v37
	v_pk_add_f32 v[40:41], v[38:39], v[40:41]
	v_pk_add_f32 v[32:33], v[38:39], v[32:33] neg_lo:[0,1] neg_hi:[0,1]
	v_mov_b32_e32 v10, v41
	v_pk_add_f32 v[42:43], v[10:11], v[18:19] neg_lo:[0,1] neg_hi:[0,1]
	v_mov_b32_e32 v40, v37
	v_mov_b32_e32 v9, v42
	;; [unrolled: 1-line block ×4, first 2 shown]
	v_pk_add_f32 v[44:45], v[36:37], v[8:9] neg_lo:[0,1] neg_hi:[0,1]
	v_pk_add_f32 v[18:19], v[40:41], v[18:19] neg_lo:[0,1] neg_hi:[0,1]
	v_mov_b32_e32 v38, v31
	v_pk_add_f32 v[18:19], v[38:39], v[18:19] neg_lo:[0,1] neg_hi:[0,1]
	v_mov_b32_e32 v44, v32
	v_pk_add_f32 v[30:31], v[44:45], v[18:19]
	v_mov_b32_e32 v33, v41
	v_mov_b32_e32 v34, v31
	v_pk_add_f32 v[36:37], v[30:31], v[34:35]
	s_nop 0
	v_pk_add_f32 v[38:39], v[10:11], v[36:37]
	v_mov_b32_e32 v19, v36
	v_mov_b32_e32 v31, v38
	v_pk_add_f32 v[40:41], v[30:31], v[32:33] neg_lo:[0,1] neg_hi:[0,1]
	s_nop 0
	v_sub_f32_e32 v9, v30, v40
	v_pk_add_f32 v[18:19], v[18:19], v[40:41] neg_lo:[0,1] neg_hi:[0,1]
	v_sub_f32_e32 v9, v32, v9
	v_add_f32_e32 v9, v18, v9
	v_add_f32_e32 v9, v9, v19
	v_add_f32_e32 v10, v38, v9
	v_sub_f32_e32 v18, v10, v38
	v_sub_f32_e32 v9, v9, v18
	v_mul_f32_e32 v18, v29, v10
	v_fma_f32 v10, v29, v10, -v18
	v_fmac_f32_e32 v10, v29, v9
	v_add_f32_e32 v9, v18, v10
	v_cmp_class_f32_e64 s[2:3], v18, s30
	v_sub_f32_e32 v19, v9, v18
	v_sub_f32_e32 v10, v10, v19
	v_cndmask_b32_e64 v9, v9, v18, s[2:3]
	v_cmp_eq_f32_e64 s[2:3], s33, v9
	s_nop 1
	v_cndmask_b32_e64 v18, 0, v26, s[2:3]
	v_sub_f32_e32 v19, v9, v18
	v_mul_f32_e32 v30, 0x3fb8aa3b, v19
	v_fma_f32 v31, v19, s34, -v30
	v_rndne_f32_e32 v32, v30
	v_fmac_f32_e32 v31, 0x32a5705f, v19
	v_sub_f32_e32 v30, v30, v32
	v_add_f32_e32 v30, v30, v31
	v_exp_f32_e32 v30, v30
	v_cvt_i32_f32_e32 v31, v32
	v_cmp_neq_f32_e64 s[2:3], |v9|, s31
	s_nop 1
	v_cndmask_b32_e64 v9, 0, v10, s[2:3]
	v_ldexp_f32 v10, v30, v31
	v_cmp_ngt_f32_e64 s[2:3], s35, v19
	v_add_f32_e32 v9, v18, v9
	s_nop 0
	v_cndmask_b32_e64 v10, 0, v10, s[2:3]
	v_cmp_nlt_f32_e64 s[2:3], s33, v19
	s_nop 1
	v_cndmask_b32_e64 v10, v27, v10, s[2:3]
	v_fma_f32 v9, v10, v9, v10
	v_cmp_class_f32_e64 s[2:3], v10, s30
	s_nop 1
	v_cndmask_b32_e64 v9, v9, v10, s[2:3]
	v_cmp_eq_f32_e64 s[2:3], v29, |v29|
	s_nop 1
	v_cndmask_b32_e64 v10, 0, |v29|, s[2:3]
	v_cndmask_b32_e64 v10, v10, 1.0, vcc
	v_cmp_class_f32_e64 s[2:3], v29, s30
	s_nop 1
	v_cndmask_b32_e64 v9, |v9|, v10, s[2:3]
	v_div_scale_f32 v10, s[2:3], v9, v9, 1.0
	v_rcp_f32_e32 v18, v10
	s_nop 0
	v_fma_f32 v19, -v10, v18, 1.0
	v_fmac_f32_e32 v18, v19, v18
	v_div_scale_f32 v19, vcc, 1.0, v9, 1.0
	v_mul_f32_e32 v29, v19, v18
	v_fma_f32 v30, -v10, v29, v19
	v_fmac_f32_e32 v29, v30, v18
	v_fma_f32 v10, -v10, v29, v19
	v_div_fmas_f32 v10, v10, v18, v29
	v_div_fixup_f32 v9, v10, v9, 1.0
	v_mul_f32_e32 v23, v23, v9
	v_fmac_f32_e32 v11, v28, v23
	v_mov_b64_e32 v[18:19], v[16:17]
	v_mov_b32_e32 v29, v8
.LBB0_53:                               ;   in Loop: Header=BB0_54 Depth=1
	s_or_b64 exec, exec, s[8:9]
	s_add_i32 s25, s25, 1
	s_add_i32 s24, s24, 52
	v_cmp_eq_u32_e32 vcc, s25, v56
	s_or_b64 s[6:7], vcc, s[6:7]
	s_andn2_b64 exec, exec, s[6:7]
	s_cbranch_execz .LBB0_61
.LBB0_54:                               ; =>This Inner Loop Header: Depth=1
	s_add_i32 s2, s24, 12
	scratch_load_dword v8, off, s2
	s_waitcnt vmcnt(0)
	v_cmp_ge_i32_e32 vcc, v8, v7
	s_and_saveexec_b64 s[8:9], vcc
	s_cbranch_execz .LBB0_53
; %bb.55:                               ;   in Loop: Header=BB0_54 Depth=1
	s_add_i32 s2, s24, 48
	scratch_load_dword v28, off, s2
	scratch_load_dwordx3 v[8:10], off, s24
	s_waitcnt vmcnt(1)
	v_cmp_eq_f32_e32 vcc, -1.0, v28
	s_and_saveexec_b64 s[22:23], vcc
	s_cbranch_execz .LBB0_57
; %bb.56:                               ;   in Loop: Header=BB0_54 Depth=1
	s_add_i32 s2, s24, 32
	s_add_i32 s3, s24, 16
	scratch_load_dwordx3 v[30:32], off, s2
	scratch_load_dwordx3 v[36:38], off, s3
	s_waitcnt vmcnt(1)
	v_cmp_eq_u32_e32 vcc, 31, v31
	s_waitcnt vmcnt(0)
	v_cmp_gt_i32_e64 s[2:3], 30, v37
	v_min_i32_e32 v17, 30, v31
	v_not_b32_e32 v16, v36
	v_sub_u32_e32 v31, 30, v37
	s_and_b64 vcc, vcc, s[2:3]
	v_sub_u32_e32 v28, v32, v38
	v_addc_co_u32_e64 v30, s[2:3], v30, v16, vcc
	v_max_i32_e32 v16, 0, v31
	v_mul_lo_u32 v30, v30, 30
	v_cndmask_b32_e64 v31, v17, 1, vcc
	v_mad_u64_u32 v[16:17], s[2:3], v28, s26, v[16:17]
	v_add3_u32 v16, v16, v31, v30
	v_cvt_f32_i32_e32 v16, v16
	v_div_scale_f32 v17, s[2:3], s27, s27, v16
	v_rcp_f32_e32 v28, v17
	v_div_scale_f32 v30, vcc, v16, s27, v16
	v_fma_f32 v31, -v17, v28, 1.0
	v_fmac_f32_e32 v28, v31, v28
	v_mul_f32_e32 v31, v30, v28
	v_fma_f32 v32, -v17, v31, v30
	v_fmac_f32_e32 v31, v32, v28
	v_fma_f32 v17, -v17, v31, v30
	v_div_fmas_f32 v17, v17, v28, v31
	v_div_fixup_f32 v16, v17, s27, v16
	scratch_load_dword v17, off, off offset:1028 ; 4-byte Folded Reload
	s_waitcnt vmcnt(0)
	v_fma_f32 v16, v17, v16, 1.0
	v_add_f32_e32 v16, -1.0, v16
	v_mul_f32_e32 v28, 0x42c80000, v16
.LBB0_57:                               ;   in Loop: Header=BB0_54 Depth=1
	s_or_b64 exec, exec, s[22:23]
	s_xor_b64 s[2:3], s[4:5], -1
	s_waitcnt vmcnt(0)
	v_mov_b32_e32 v16, v9
	v_mov_b32_e32 v17, v10
	v_cmp_eq_u32_e32 vcc, 31, v9
	v_min_i32_e32 v9, 30, v9
                                        ; implicit-def: $vgpr30
	s_and_saveexec_b64 s[22:23], s[2:3]
	s_xor_b64 s[22:23], exec, s[22:23]
	s_cbranch_execz .LBB0_59
; %bb.58:                               ;   in Loop: Header=BB0_54 Depth=1
	v_cmp_gt_i32_e64 s[2:3], 30, v18
	s_and_b64 s[2:3], vcc, s[2:3]
	v_not_b32_e32 v29, v29
	v_cndmask_b32_e64 v30, 0, 1, s[2:3]
	v_sub_u32_e32 v18, 30, v18
	v_sub_u32_e32 v19, v10, v19
	v_add3_u32 v29, v8, v29, v30
	v_max_i32_e32 v18, 0, v18
	v_mul_lo_u32 v29, v29, 30
	v_cndmask_b32_e64 v9, v9, 1, s[2:3]
	v_mad_u64_u32 v[18:19], s[2:3], v19, s26, v[18:19]
	v_add3_u32 v30, v18, v9, v29
                                        ; implicit-def: $vgpr9
.LBB0_59:                               ;   in Loop: Header=BB0_54 Depth=1
	s_andn2_saveexec_b64 s[2:3], s[22:23]
	s_cbranch_execz .LBB0_52
; %bb.60:                               ;   in Loop: Header=BB0_54 Depth=1
	s_and_b64 s[22:23], vcc, s[0:1]
	v_cndmask_b32_e64 v18, 0, 1, s[22:23]
	v_sub_u32_e32 v10, v10, v6
	v_add3_u32 v18, v8, v22, v18
	v_mul_lo_u32 v29, v18, 30
	v_cndmask_b32_e64 v9, v9, 1, s[22:23]
	v_mad_u64_u32 v[18:19], s[22:23], v10, s26, v[4:5]
	v_add3_u32 v30, v18, v9, v29
	s_branch .LBB0_52
.LBB0_61:
	s_or_b64 exec, exec, s[6:7]
	v_sub_f32_e32 v8, v5, v11
	s_mov_b64 s[22:23], 0
	v_mov_b32_e32 v10, 2
	v_mov_b32_e32 v33, 0x3d6147ae
	;; [unrolled: 1-line block ×3, first 2 shown]
	v_mov_b32_e32 v32, -1
	v_mov_b32_e32 v26, 0x230
	s_movk_i32 s33, 0x168
	s_mov_b32 s48, 0x43b40000
	s_mov_b32 s49, 0x3f2aaaab
	v_mov_b32_e32 v27, 0x3e91f4c4
	s_mov_b32 s50, 0x3f317218
	s_movk_i32 s51, 0x204
	s_mov_b32 s52, 0x7f800000
	s_mov_b32 s53, 0x42b17218
	;; [unrolled: 1-line block ×4, first 2 shown]
	s_brev_b32 s56, -2
	s_movk_i32 s57, 0x63
	v_mov_b32_e32 v29, 0x37000000
	v_mov_b32_e32 v30, 0x7f800000
	;; [unrolled: 1-line block ×3, first 2 shown]
                                        ; implicit-def: $vgpr9
                                        ; implicit-def: $sgpr24_sgpr25
                                        ; implicit-def: $sgpr28_sgpr29
                                        ; implicit-def: $sgpr26_sgpr27
	s_branch .LBB0_65
.LBB0_62:                               ;   in Loop: Header=BB0_65 Depth=1
	s_or_b64 exec, exec, s[36:37]
	v_sub_f32_e32 v35, v5, v35
	v_mov_b32_e32 v9, v23
	v_mov_b32_e32 v8, v28
	;; [unrolled: 1-line block ×3, first 2 shown]
.LBB0_63:                               ;   in Loop: Header=BB0_65 Depth=1
	s_or_b64 exec, exec, s[34:35]
	v_cmp_lt_i32_e32 vcc, s57, v9
	s_andn2_b64 s[4:5], s[28:29], exec
	s_and_b64 s[6:7], vcc, exec
	v_add_u32_e32 v10, 1, v9
	s_mov_b32 s2, 0
	s_andn2_b64 s[26:27], s[26:27], exec
	s_or_b64 s[28:29], s[4:5], s[6:7]
.LBB0_64:                               ;   in Loop: Header=BB0_65 Depth=1
	s_or_b64 exec, exec, s[30:31]
	s_and_b64 s[4:5], exec, s[28:29]
	s_or_b64 s[22:23], s[4:5], s[22:23]
	v_mov_b32_e32 v18, s2
	s_andn2_b64 s[2:3], s[24:25], exec
	s_and_b64 s[4:5], s[26:27], exec
	s_or_b64 s[24:25], s[2:3], s[4:5]
	s_andn2_b64 exec, exec, s[22:23]
	s_cbranch_execz .LBB0_121
.LBB0_65:                               ; =>This Loop Header: Depth=1
                                        ;     Child Loop BB0_73 Depth 2
                                        ;     Child Loop BB0_87 Depth 2
	;; [unrolled: 1-line block ×4, first 2 shown]
	v_mov_b32_e32 v25, v35
	v_mov_b32_e32 v28, v8
	v_mul_f32_e32 v8, v28, v25
	v_mov_b32_e32 v11, v34
	v_mov_b32_e32 v24, v33
	;; [unrolled: 1-line block ×3, first 2 shown]
	v_cmp_nge_f32_e32 vcc, 0, v8
	s_or_b64 s[26:27], s[26:27], exec
	s_or_b64 s[28:29], s[28:29], exec
                                        ; implicit-def: $vgpr34
                                        ; implicit-def: $vgpr33
                                        ; implicit-def: $vgpr35
                                        ; implicit-def: $vgpr8
                                        ; implicit-def: $vgpr10
                                        ; implicit-def: $sgpr2
	s_and_saveexec_b64 s[30:31], vcc
	s_cbranch_execz .LBB0_64
; %bb.66:                               ;   in Loop: Header=BB0_65 Depth=1
	v_cmp_nlt_f32_e64 s[2:3], |v25|, |v28|
                                        ; implicit-def: $vgpr9
                                        ; implicit-def: $vgpr8
                                        ; implicit-def: $vgpr35
                                        ; implicit-def: $vgpr33
                                        ; implicit-def: $vgpr34
	s_and_saveexec_b64 s[4:5], s[2:3]
	s_xor_b64 s[34:35], exec, s[4:5]
	s_cbranch_execz .LBB0_110
; %bb.67:                               ;   in Loop: Header=BB0_65 Depth=1
	v_cmp_ngt_f32_e64 s[2:3], |v25|, |v28|
                                        ; implicit-def: $vgpr9
                                        ; implicit-def: $vgpr8
                                        ; implicit-def: $vgpr35
                                        ; implicit-def: $vgpr33
                                        ; implicit-def: $vgpr34
	s_and_saveexec_b64 s[4:5], s[2:3]
	s_xor_b64 s[36:37], exec, s[4:5]
	s_cbranch_execz .LBB0_97
; %bb.68:                               ;   in Loop: Header=BB0_65 Depth=1
	v_cmp_lt_i32_e32 vcc, 0, v32
                                        ; implicit-def: $vgpr8
                                        ; implicit-def: $vgpr33
	s_and_saveexec_b64 s[2:3], vcc
	s_xor_b64 s[38:39], exec, s[2:3]
	s_cbranch_execz .LBB0_82
; %bb.69:                               ;   in Loop: Header=BB0_65 Depth=1
	v_cmp_eq_u32_e32 vcc, 1, v32
	v_mov_b32_e32 v32, 0
	v_mov_b32_e32 v8, v28
	;; [unrolled: 1-line block ×3, first 2 shown]
	s_and_saveexec_b64 s[40:41], vcc
	s_cbranch_execz .LBB0_81
; %bb.70:                               ;   in Loop: Header=BB0_65 Depth=1
	v_sub_f32_e32 v8, v24, v11
	v_fmamk_f32 v33, v8, 0x3fcccccd, v24
	v_fma_f32 v32, v33, 0.5, 1.0
	v_readfirstlane_b32 s4, v26
	v_cmp_eq_f32_e64 s[2:3], 1.0, v32
	s_mov_b32 s58, s4
	s_mov_b64 s[44:45], -1
	s_mov_b64 s[42:43], 0
	v_mov_b32_e32 v34, 0
	v_mov_b32_e32 v35, 1.0
	v_mov_b32_e32 v36, v21
                                        ; implicit-def: $vgpr38
                                        ; implicit-def: $vgpr18_vgpr19
	s_branch .LBB0_73
.LBB0_71:                               ;   in Loop: Header=BB0_73 Depth=2
	s_or_b64 exec, exec, s[4:5]
	v_cvt_f32_i32_e32 v9, v39
	s_andn2_b64 s[44:45], s[44:45], exec
	v_div_scale_f32 v10, s[4:5], s48, s48, v9
	v_rcp_f32_e32 v18, v10
	v_div_scale_f32 v19, vcc, v9, s48, v9
	v_fma_f32 v38, -v10, v18, 1.0
	v_fmac_f32_e32 v18, v38, v18
	v_mul_f32_e32 v38, v19, v18
	v_fma_f32 v39, -v10, v38, v19
	v_fmac_f32_e32 v38, v39, v18
	v_fma_f32 v10, -v10, v38, v19
	v_div_fmas_f32 v10, v10, v18, v38
	v_div_fixup_f32 v9, v10, s48, v9
	v_add_f32_e32 v52, v9, v9
	v_cndmask_b32_e64 v53, v52, 1.0, s[2:3]
	v_cmp_eq_f32_e32 vcc, 0, v53
	v_cmp_gt_f32_e64 s[8:9], 0, v53
	s_nop 0
	v_cndmask_b32_e64 v54, |v32|, 1.0, vcc
	v_frexp_mant_f32_e32 v9, v54
	v_cmp_gt_f32_e64 s[4:5], s49, v9
	v_cmp_gt_f32_e64 s[6:7], 1.0, v54
	s_nop 0
	v_cndmask_b32_e64 v10, 1.0, 2.0, s[4:5]
	v_mul_f32_e32 v9, v9, v10
	v_add_f32_e32 v10, 1.0, v9
	v_rcp_f32_e32 v44, v10
	v_add_f32_e32 v19, -1.0, v9
	v_add_f32_e32 v18, -1.0, v10
	v_sub_f32_e32 v9, v9, v18
	v_mul_f32_e32 v45, v19, v44
	v_mul_f32_e32 v38, v10, v45
	v_fma_f32 v40, v45, v10, -v38
	v_fmac_f32_e32 v40, v45, v9
	v_add_f32_e32 v18, v38, v40
	v_sub_f32_e32 v39, v19, v18
	v_pk_add_f32 v[42:43], v[18:19], v[38:39] neg_lo:[0,1] neg_hi:[0,1]
	v_mov_b32_e32 v41, v18
	v_pk_add_f32 v[18:19], v[42:43], v[40:41] neg_lo:[0,1] neg_hi:[0,1]
	s_nop 0
	v_add_f32_e32 v9, v18, v19
	v_add_f32_e32 v9, v39, v9
	v_mul_f32_e32 v9, v44, v9
	v_add_f32_e32 v18, v45, v9
	v_sub_f32_e32 v10, v18, v45
	v_sub_f32_e32 v9, v9, v10
	v_mul_f32_e32 v10, v18, v18
	v_fma_f32 v19, v18, v18, -v10
	v_add_f32_e32 v38, v9, v9
	v_fmac_f32_e32 v19, v18, v38
	v_add_f32_e32 v38, v10, v19
	v_fmamk_f32 v39, v38, 0x3e76c4e1, v27
	v_fmaak_f32 v39, v38, v39, 0x3ecccdef
	v_sub_f32_e32 v10, v38, v10
	v_sub_f32_e32 v10, v19, v10
	v_mul_f32_e32 v19, v38, v39
	v_fma_f32 v40, v38, v39, -v19
	v_fmac_f32_e32 v40, v10, v39
	v_add_f32_e32 v39, v19, v40
	v_add_f32_e32 v41, 0x3f2aaaaa, v39
	v_sub_f32_e32 v19, v39, v19
	v_sub_f32_e32 v19, v40, v19
	v_add_f32_e32 v40, 0xbf2aaaaa, v41
	v_add_f32_e32 v19, 0x31739010, v19
	v_sub_f32_e32 v39, v39, v40
	v_pk_mul_f32 v[42:43], v[18:19], v[38:39]
	v_pk_add_f32 v[44:45], v[18:19], v[38:39]
	v_fma_f32 v40, v38, v18, -v42
	v_fmac_f32_e32 v40, v38, v9
	v_mov_b32_e32 v43, v45
	v_fmac_f32_e32 v40, v10, v18
	v_pk_add_f32 v[38:39], v[42:43], v[40:41]
	v_ldexp_f32 v9, v9, 1
	v_sub_f32_e32 v10, v38, v42
	v_sub_f32_e32 v19, v40, v10
	;; [unrolled: 1-line block ×3, first 2 shown]
	v_add_f32_e32 v44, v45, v10
	v_mov_b32_e32 v10, v39
	v_cvt_f64_f32_e32 v[42:43], v54
	v_pk_mul_f32 v[40:41], v[38:39], v[10:11]
	v_frexp_exp_i32_f64_e32 v10, v[42:43]
	v_subbrev_co_u32_e64 v10, s[4:5], 0, v10, s[4:5]
	v_cvt_f32_i32_e32 v10, v10
	v_fma_f32 v42, v38, v39, -v40
	v_fmac_f32_e32 v42, v38, v44
	v_fmac_f32_e32 v42, v19, v39
	v_mul_f32_e32 v38, 0x3f317218, v10
	v_fma_f32 v44, v10, s50, -v38
	v_fmac_f32_e32 v44, 0xb102e308, v10
	v_ldexp_f32 v45, v18, 1
	v_add_f32_e32 v39, v40, v42
	v_pk_add_f32 v[18:19], v[38:39], v[44:45]
	v_mov_b32_e32 v46, v39
	v_mov_b32_e32 v47, v19
	;; [unrolled: 1-line block ×3, first 2 shown]
	v_pk_add_f32 v[40:41], v[46:47], v[40:41] neg_lo:[0,1] neg_hi:[0,1]
	v_mov_b32_e32 v43, v39
	v_pk_add_f32 v[40:41], v[42:43], v[40:41] neg_lo:[0,1] neg_hi:[0,1]
	v_mov_b32_e32 v45, v18
	v_add_f32_e32 v9, v9, v40
	v_add_f32_e32 v39, v9, v41
	v_pk_add_f32 v[40:41], v[18:19], v[38:39] neg_lo:[0,1] neg_hi:[0,1]
	v_pk_add_f32 v[42:43], v[18:19], v[38:39]
	v_mov_b32_e32 v46, v40
	v_mov_b32_e32 v47, v43
	v_pk_add_f32 v[46:47], v[44:45], v[46:47]
	v_pk_add_f32 v[40:41], v[44:45], v[40:41] neg_lo:[0,1] neg_hi:[0,1]
	v_mov_b32_e32 v10, v47
	v_pk_add_f32 v[48:49], v[10:11], v[18:19] neg_lo:[0,1] neg_hi:[0,1]
	v_mov_b32_e32 v46, v43
	v_mov_b32_e32 v9, v48
	;; [unrolled: 1-line block ×4, first 2 shown]
	v_pk_add_f32 v[50:51], v[42:43], v[8:9] neg_lo:[0,1] neg_hi:[0,1]
	v_pk_add_f32 v[18:19], v[46:47], v[18:19] neg_lo:[0,1] neg_hi:[0,1]
	v_mov_b32_e32 v44, v39
	v_pk_add_f32 v[18:19], v[44:45], v[18:19] neg_lo:[0,1] neg_hi:[0,1]
	v_mov_b32_e32 v50, v40
	v_pk_add_f32 v[38:39], v[50:51], v[18:19]
	v_mov_b32_e32 v41, v47
	v_mov_b32_e32 v42, v39
	v_pk_add_f32 v[42:43], v[38:39], v[42:43]
	s_nop 0
	v_pk_add_f32 v[44:45], v[10:11], v[42:43]
	v_mov_b32_e32 v19, v42
	v_mov_b32_e32 v39, v44
	v_pk_add_f32 v[46:47], v[38:39], v[40:41] neg_lo:[0,1] neg_hi:[0,1]
	s_nop 0
	v_sub_f32_e32 v9, v38, v46
	v_pk_add_f32 v[18:19], v[18:19], v[46:47] neg_lo:[0,1] neg_hi:[0,1]
	v_sub_f32_e32 v9, v40, v9
	v_add_f32_e32 v9, v18, v9
	v_add_f32_e32 v9, v9, v19
	;; [unrolled: 1-line block ×3, first 2 shown]
	v_sub_f32_e32 v18, v10, v44
	v_sub_f32_e32 v9, v9, v18
	v_mul_f32_e32 v18, v53, v10
	v_fma_f32 v10, v53, v10, -v18
	v_fmac_f32_e32 v10, v53, v9
	v_add_f32_e32 v9, v18, v10
	v_cmp_class_f32_e64 s[4:5], v18, s51
	v_sub_f32_e32 v19, v9, v18
	v_sub_f32_e32 v10, v10, v19
	v_cndmask_b32_e64 v9, v9, v18, s[4:5]
	v_cmp_eq_f32_e64 s[4:5], s53, v9
	s_nop 1
	v_cndmask_b32_e64 v18, 0, v29, s[4:5]
	v_sub_f32_e32 v19, v9, v18
	v_mul_f32_e32 v38, 0x3fb8aa3b, v19
	v_fma_f32 v39, v19, s54, -v38
	v_rndne_f32_e32 v40, v38
	v_fmac_f32_e32 v39, 0x32a5705f, v19
	v_sub_f32_e32 v38, v38, v40
	v_add_f32_e32 v38, v38, v39
	v_exp_f32_e32 v38, v38
	v_cvt_i32_f32_e32 v39, v40
	v_cmp_neq_f32_e64 s[4:5], |v9|, s52
	s_nop 1
	v_cndmask_b32_e64 v9, 0, v10, s[4:5]
	v_ldexp_f32 v10, v38, v39
	v_cmp_ngt_f32_e64 s[4:5], s55, v19
	v_add_f32_e32 v9, v18, v9
	v_trunc_f32_e32 v18, v53
	v_cndmask_b32_e64 v10, 0, v10, s[4:5]
	v_cmp_nlt_f32_e64 s[4:5], s53, v19
	s_nop 1
	v_cndmask_b32_e64 v10, v30, v10, s[4:5]
	v_fma_f32 v9, v10, v9, v10
	v_cmp_class_f32_e64 s[4:5], v10, s51
	s_nop 1
	v_cndmask_b32_e64 v9, v9, v10, s[4:5]
	v_cndmask_b32_e64 v10, v32, 1.0, vcc
	v_cmp_eq_f32_e32 vcc, v18, v53
	v_mul_f32_e32 v18, 0.5, v53
	v_trunc_f32_e32 v19, v18
	v_cmp_neq_f32_e64 s[4:5], v19, v18
	s_and_b64 s[4:5], vcc, s[4:5]
	s_nop 0
	v_cndmask_b32_e64 v18, 1.0, v10, s[4:5]
	v_bfi_b32 v9, s56, v9, v18
	v_cndmask_b32_e32 v18, v31, v9, vcc
	v_cmp_gt_f32_e32 vcc, 0, v10
	s_nop 1
	v_cndmask_b32_e32 v9, v9, v18, vcc
	v_cndmask_b32_e64 v18, |v52|, 1.0, s[2:3]
	v_cmp_neq_f32_e32 vcc, v53, v18
	s_xor_b64 s[6:7], vcc, s[6:7]
	v_cndmask_b32_e64 v19, v18, 0, s[6:7]
	v_cmp_eq_f32_e32 vcc, 1.0, v54
	v_cmp_eq_f32_e64 s[6:7], 0, v10
	s_xor_b64 s[8:9], s[8:9], s[6:7]
	v_cndmask_b32_e32 v19, v19, v54, vcc
	v_cmp_eq_f32_e32 vcc, s52, v18
	v_cndmask_b32_e64 v18, v30, 0, s[8:9]
	s_nop 0
	v_cndmask_b32_e32 v9, v9, v19, vcc
	v_cmp_eq_f32_e32 vcc, s52, v54
	v_cndmask_b32_e64 v19, 0, v10, s[4:5]
	v_bfi_b32 v18, s56, v18, v19
	s_or_b64 vcc, vcc, s[6:7]
	v_cndmask_b32_e32 v9, v9, v18, vcc
	v_div_scale_f32 v18, s[4:5], v9, v9, 1.0
	v_rcp_f32_e32 v19, v18
	s_nop 0
	v_fma_f32 v38, -v18, v19, 1.0
	v_fmac_f32_e32 v19, v38, v19
	v_div_scale_f32 v38, vcc, 1.0, v9, 1.0
	v_mul_f32_e32 v39, v38, v19
	v_fma_f32 v40, -v18, v39, v38
	v_fmac_f32_e32 v39, v40, v19
	v_fma_f32 v18, -v18, v39, v38
	v_div_fmas_f32 v18, v18, v19, v39
	v_div_fixup_f32 v9, v18, v9, 1.0
	v_cmp_o_f32_e32 vcc, v10, v10
	v_mov_b64_e32 v[18:19], v[16:17]
	v_mov_b32_e32 v38, v8
	v_cndmask_b32_e32 v9, v31, v9, vcc
	v_mul_f32_e32 v35, v35, v9
	v_fmac_f32_e32 v34, v37, v35
.LBB0_72:                               ;   in Loop: Header=BB0_73 Depth=2
	s_or_b64 exec, exec, s[46:47]
	v_add_u32_e32 v36, -1, v36
	s_add_i32 s58, s58, 52
	v_cmp_eq_u32_e32 vcc, 0, v36
	s_or_b64 s[42:43], vcc, s[42:43]
	s_andn2_b64 exec, exec, s[42:43]
	s_cbranch_execz .LBB0_80
.LBB0_73:                               ;   Parent Loop BB0_65 Depth=1
                                        ; =>  This Inner Loop Header: Depth=2
	s_add_i32 s4, s58, 12
	scratch_load_dword v8, off, s4
	s_waitcnt vmcnt(0)
	v_cmp_ge_i32_e32 vcc, v8, v7
	s_and_saveexec_b64 s[46:47], vcc
	s_cbranch_execz .LBB0_72
; %bb.74:                               ;   in Loop: Header=BB0_73 Depth=2
	s_add_i32 s4, s58, 48
	scratch_load_dword v37, off, s4
	scratch_load_dwordx3 v[8:10], off, s58
	s_waitcnt vmcnt(1)
	v_cmp_eq_f32_e32 vcc, -1.0, v37
	s_and_saveexec_b64 s[6:7], vcc
	s_cbranch_execz .LBB0_76
; %bb.75:                               ;   in Loop: Header=BB0_73 Depth=2
	s_add_i32 s4, s58, 32
	s_add_i32 s5, s58, 16
	scratch_load_dwordx3 v[40:42], off, s4
	scratch_load_dwordx3 v[44:46], off, s5
	s_waitcnt vmcnt(1)
	v_cmp_eq_u32_e32 vcc, 31, v41
	s_waitcnt vmcnt(0)
	v_cmp_gt_i32_e64 s[4:5], 30, v45
	v_not_b32_e32 v16, v44
	v_sub_u32_e32 v39, 30, v45
	s_and_b64 vcc, vcc, s[4:5]
	v_min_i32_e32 v17, 30, v41
	v_sub_u32_e32 v37, v42, v46
	v_addc_co_u32_e64 v40, s[4:5], v40, v16, vcc
	v_max_i32_e32 v16, 0, v39
	v_mul_lo_u32 v39, v40, 30
	v_cndmask_b32_e64 v40, v17, 1, vcc
	v_mad_u64_u32 v[16:17], s[4:5], v37, s33, v[16:17]
	v_add3_u32 v16, v16, v40, v39
	v_cvt_f32_i32_e32 v16, v16
	v_div_scale_f32 v17, s[4:5], s48, s48, v16
	v_rcp_f32_e32 v37, v17
	v_div_scale_f32 v39, vcc, v16, s48, v16
	v_fma_f32 v40, -v17, v37, 1.0
	v_fmac_f32_e32 v37, v40, v37
	v_mul_f32_e32 v40, v39, v37
	v_fma_f32 v41, -v17, v40, v39
	v_fmac_f32_e32 v40, v41, v37
	v_fma_f32 v17, -v17, v40, v39
	v_div_fmas_f32 v17, v17, v37, v40
	v_div_fixup_f32 v16, v17, s48, v16
	scratch_load_dword v17, off, off offset:1028 ; 4-byte Folded Reload
	s_waitcnt vmcnt(0)
	v_fma_f32 v16, v17, v16, 1.0
	v_add_f32_e32 v16, -1.0, v16
	v_mul_f32_e32 v37, 0x42c80000, v16
.LBB0_76:                               ;   in Loop: Header=BB0_73 Depth=2
	s_or_b64 exec, exec, s[6:7]
	s_xor_b64 s[4:5], s[44:45], -1
	s_waitcnt vmcnt(0)
	v_mov_b32_e32 v16, v9
	v_mov_b32_e32 v17, v10
	v_cmp_eq_u32_e32 vcc, 31, v9
	v_min_i32_e32 v9, 30, v9
                                        ; implicit-def: $vgpr39
	s_and_saveexec_b64 s[6:7], s[4:5]
	s_xor_b64 s[6:7], exec, s[6:7]
	s_cbranch_execz .LBB0_78
; %bb.77:                               ;   in Loop: Header=BB0_73 Depth=2
	v_cmp_gt_i32_e64 s[4:5], 30, v18
	s_and_b64 s[4:5], vcc, s[4:5]
	v_sub_u32_e32 v19, v10, v19
	v_cndmask_b32_e64 v39, 0, 1, s[4:5]
	v_not_b32_e32 v10, v38
	v_add3_u32 v10, v8, v10, v39
	v_mul_lo_u32 v38, v10, 30
	v_sub_u32_e32 v10, 30, v18
	v_max_i32_e32 v10, 0, v10
	v_cndmask_b32_e64 v9, v9, 1, s[4:5]
	v_mad_u64_u32 v[18:19], s[4:5], v19, s33, v[10:11]
	v_add3_u32 v39, v18, v9, v38
                                        ; implicit-def: $vgpr9
.LBB0_78:                               ;   in Loop: Header=BB0_73 Depth=2
	s_andn2_saveexec_b64 s[4:5], s[6:7]
	s_cbranch_execz .LBB0_71
; %bb.79:                               ;   in Loop: Header=BB0_73 Depth=2
	s_and_b64 s[6:7], vcc, s[0:1]
	v_cndmask_b32_e64 v18, 0, 1, s[6:7]
	v_sub_u32_e32 v10, v10, v6
	v_add3_u32 v18, v8, v22, v18
	v_mul_lo_u32 v38, v18, 30
	v_cndmask_b32_e64 v9, v9, 1, s[6:7]
	v_mad_u64_u32 v[18:19], s[6:7], v10, s33, v[4:5]
	v_add3_u32 v39, v18, v9, v38
	s_branch .LBB0_71
.LBB0_80:                               ;   in Loop: Header=BB0_65 Depth=1
	s_or_b64 exec, exec, s[42:43]
	v_sub_f32_e32 v8, v5, v34
	v_mov_b32_e32 v32, -1
.LBB0_81:                               ;   in Loop: Header=BB0_65 Depth=1
	s_or_b64 exec, exec, s[40:41]
.LBB0_82:                               ;   in Loop: Header=BB0_65 Depth=1
	s_or_saveexec_b64 s[38:39], s[38:39]
	v_mov_b32_e32 v9, v23
	v_mov_b32_e32 v35, v25
	;; [unrolled: 1-line block ×3, first 2 shown]
	s_xor_b64 exec, exec, s[38:39]
	s_cbranch_execz .LBB0_96
; %bb.83:                               ;   in Loop: Header=BB0_65 Depth=1
	v_cmp_eq_u32_e32 vcc, -1, v32
	v_mov_b32_e32 v32, 0
	v_mov_b32_e32 v9, v23
	;; [unrolled: 1-line block ×4, first 2 shown]
	s_and_saveexec_b64 s[40:41], vcc
	s_cbranch_execz .LBB0_95
; %bb.84:                               ;   in Loop: Header=BB0_65 Depth=1
	v_sub_f32_e32 v8, v11, v24
	v_fmamk_f32 v34, v8, 0x3fcccccd, v11
	v_fma_f32 v32, v34, 0.5, 1.0
	v_readfirstlane_b32 s4, v26
	v_cmp_eq_f32_e64 s[2:3], 1.0, v32
	s_mov_b32 s58, s4
	s_mov_b64 s[44:45], -1
	s_mov_b64 s[42:43], 0
	v_mov_b32_e32 v33, 0
	v_mov_b32_e32 v35, 1.0
	v_mov_b32_e32 v36, v21
                                        ; implicit-def: $vgpr38
                                        ; implicit-def: $vgpr18_vgpr19
	s_branch .LBB0_87
.LBB0_85:                               ;   in Loop: Header=BB0_87 Depth=2
	s_or_b64 exec, exec, s[4:5]
	v_cvt_f32_i32_e32 v9, v39
	s_andn2_b64 s[44:45], s[44:45], exec
	v_div_scale_f32 v10, s[4:5], s48, s48, v9
	v_rcp_f32_e32 v18, v10
	v_div_scale_f32 v19, vcc, v9, s48, v9
	v_fma_f32 v38, -v10, v18, 1.0
	v_fmac_f32_e32 v18, v38, v18
	v_mul_f32_e32 v38, v19, v18
	v_fma_f32 v39, -v10, v38, v19
	v_fmac_f32_e32 v38, v39, v18
	v_fma_f32 v10, -v10, v38, v19
	v_div_fmas_f32 v10, v10, v18, v38
	v_div_fixup_f32 v9, v10, s48, v9
	v_add_f32_e32 v52, v9, v9
	v_cndmask_b32_e64 v53, v52, 1.0, s[2:3]
	v_cmp_eq_f32_e32 vcc, 0, v53
	v_cmp_gt_f32_e64 s[8:9], 0, v53
	s_nop 0
	v_cndmask_b32_e64 v54, |v32|, 1.0, vcc
	v_frexp_mant_f32_e32 v9, v54
	v_cmp_gt_f32_e64 s[4:5], s49, v9
	v_cmp_gt_f32_e64 s[6:7], 1.0, v54
	s_nop 0
	v_cndmask_b32_e64 v10, 1.0, 2.0, s[4:5]
	v_mul_f32_e32 v9, v9, v10
	v_add_f32_e32 v10, 1.0, v9
	v_rcp_f32_e32 v44, v10
	v_add_f32_e32 v19, -1.0, v9
	v_add_f32_e32 v18, -1.0, v10
	v_sub_f32_e32 v9, v9, v18
	v_mul_f32_e32 v45, v19, v44
	v_mul_f32_e32 v38, v10, v45
	v_fma_f32 v40, v45, v10, -v38
	v_fmac_f32_e32 v40, v45, v9
	v_add_f32_e32 v18, v38, v40
	v_sub_f32_e32 v39, v19, v18
	v_pk_add_f32 v[42:43], v[18:19], v[38:39] neg_lo:[0,1] neg_hi:[0,1]
	v_mov_b32_e32 v41, v18
	v_pk_add_f32 v[18:19], v[42:43], v[40:41] neg_lo:[0,1] neg_hi:[0,1]
	s_nop 0
	v_add_f32_e32 v9, v18, v19
	v_add_f32_e32 v9, v39, v9
	v_mul_f32_e32 v9, v44, v9
	v_add_f32_e32 v18, v45, v9
	v_sub_f32_e32 v10, v18, v45
	v_sub_f32_e32 v9, v9, v10
	v_mul_f32_e32 v10, v18, v18
	v_fma_f32 v19, v18, v18, -v10
	v_add_f32_e32 v38, v9, v9
	v_fmac_f32_e32 v19, v18, v38
	v_add_f32_e32 v38, v10, v19
	v_fmamk_f32 v39, v38, 0x3e76c4e1, v27
	v_fmaak_f32 v39, v38, v39, 0x3ecccdef
	v_sub_f32_e32 v10, v38, v10
	v_sub_f32_e32 v10, v19, v10
	v_mul_f32_e32 v19, v38, v39
	v_fma_f32 v40, v38, v39, -v19
	v_fmac_f32_e32 v40, v10, v39
	v_add_f32_e32 v39, v19, v40
	v_add_f32_e32 v41, 0x3f2aaaaa, v39
	v_sub_f32_e32 v19, v39, v19
	v_sub_f32_e32 v19, v40, v19
	v_add_f32_e32 v40, 0xbf2aaaaa, v41
	v_add_f32_e32 v19, 0x31739010, v19
	v_sub_f32_e32 v39, v39, v40
	v_pk_mul_f32 v[42:43], v[18:19], v[38:39]
	v_pk_add_f32 v[44:45], v[18:19], v[38:39]
	v_fma_f32 v40, v38, v18, -v42
	v_fmac_f32_e32 v40, v38, v9
	v_mov_b32_e32 v43, v45
	v_fmac_f32_e32 v40, v10, v18
	v_pk_add_f32 v[38:39], v[42:43], v[40:41]
	v_ldexp_f32 v9, v9, 1
	v_sub_f32_e32 v10, v38, v42
	v_sub_f32_e32 v19, v40, v10
	;; [unrolled: 1-line block ×3, first 2 shown]
	v_add_f32_e32 v44, v45, v10
	v_mov_b32_e32 v10, v39
	v_cvt_f64_f32_e32 v[42:43], v54
	v_pk_mul_f32 v[40:41], v[38:39], v[10:11]
	v_frexp_exp_i32_f64_e32 v10, v[42:43]
	v_subbrev_co_u32_e64 v10, s[4:5], 0, v10, s[4:5]
	v_cvt_f32_i32_e32 v10, v10
	v_fma_f32 v42, v38, v39, -v40
	v_fmac_f32_e32 v42, v38, v44
	v_fmac_f32_e32 v42, v19, v39
	v_mul_f32_e32 v38, 0x3f317218, v10
	v_fma_f32 v44, v10, s50, -v38
	v_fmac_f32_e32 v44, 0xb102e308, v10
	v_ldexp_f32 v45, v18, 1
	v_add_f32_e32 v39, v40, v42
	v_pk_add_f32 v[18:19], v[38:39], v[44:45]
	v_mov_b32_e32 v46, v39
	v_mov_b32_e32 v47, v19
	;; [unrolled: 1-line block ×3, first 2 shown]
	v_pk_add_f32 v[40:41], v[46:47], v[40:41] neg_lo:[0,1] neg_hi:[0,1]
	v_mov_b32_e32 v43, v39
	v_pk_add_f32 v[40:41], v[42:43], v[40:41] neg_lo:[0,1] neg_hi:[0,1]
	v_mov_b32_e32 v45, v18
	v_add_f32_e32 v9, v9, v40
	v_add_f32_e32 v39, v9, v41
	v_pk_add_f32 v[40:41], v[18:19], v[38:39] neg_lo:[0,1] neg_hi:[0,1]
	v_pk_add_f32 v[42:43], v[18:19], v[38:39]
	v_mov_b32_e32 v46, v40
	v_mov_b32_e32 v47, v43
	v_pk_add_f32 v[46:47], v[44:45], v[46:47]
	v_pk_add_f32 v[40:41], v[44:45], v[40:41] neg_lo:[0,1] neg_hi:[0,1]
	v_mov_b32_e32 v10, v47
	v_pk_add_f32 v[48:49], v[10:11], v[18:19] neg_lo:[0,1] neg_hi:[0,1]
	v_mov_b32_e32 v46, v43
	v_mov_b32_e32 v9, v48
	v_mov_b32_e32 v18, v19
	v_mov_b32_e32 v19, v48
	v_pk_add_f32 v[50:51], v[42:43], v[8:9] neg_lo:[0,1] neg_hi:[0,1]
	v_pk_add_f32 v[18:19], v[46:47], v[18:19] neg_lo:[0,1] neg_hi:[0,1]
	v_mov_b32_e32 v44, v39
	v_pk_add_f32 v[18:19], v[44:45], v[18:19] neg_lo:[0,1] neg_hi:[0,1]
	v_mov_b32_e32 v50, v40
	v_pk_add_f32 v[38:39], v[50:51], v[18:19]
	v_mov_b32_e32 v41, v47
	v_mov_b32_e32 v42, v39
	v_pk_add_f32 v[42:43], v[38:39], v[42:43]
	s_nop 0
	v_pk_add_f32 v[44:45], v[10:11], v[42:43]
	v_mov_b32_e32 v19, v42
	v_mov_b32_e32 v39, v44
	v_pk_add_f32 v[46:47], v[38:39], v[40:41] neg_lo:[0,1] neg_hi:[0,1]
	s_nop 0
	v_sub_f32_e32 v9, v38, v46
	v_pk_add_f32 v[18:19], v[18:19], v[46:47] neg_lo:[0,1] neg_hi:[0,1]
	v_sub_f32_e32 v9, v40, v9
	v_add_f32_e32 v9, v18, v9
	v_add_f32_e32 v9, v9, v19
	;; [unrolled: 1-line block ×3, first 2 shown]
	v_sub_f32_e32 v18, v10, v44
	v_sub_f32_e32 v9, v9, v18
	v_mul_f32_e32 v18, v53, v10
	v_fma_f32 v10, v53, v10, -v18
	v_fmac_f32_e32 v10, v53, v9
	v_add_f32_e32 v9, v18, v10
	v_cmp_class_f32_e64 s[4:5], v18, s51
	v_sub_f32_e32 v19, v9, v18
	v_sub_f32_e32 v10, v10, v19
	v_cndmask_b32_e64 v9, v9, v18, s[4:5]
	v_cmp_eq_f32_e64 s[4:5], s53, v9
	s_nop 1
	v_cndmask_b32_e64 v18, 0, v29, s[4:5]
	v_sub_f32_e32 v19, v9, v18
	v_mul_f32_e32 v38, 0x3fb8aa3b, v19
	v_fma_f32 v39, v19, s54, -v38
	v_rndne_f32_e32 v40, v38
	v_fmac_f32_e32 v39, 0x32a5705f, v19
	v_sub_f32_e32 v38, v38, v40
	v_add_f32_e32 v38, v38, v39
	v_exp_f32_e32 v38, v38
	v_cvt_i32_f32_e32 v39, v40
	v_cmp_neq_f32_e64 s[4:5], |v9|, s52
	s_nop 1
	v_cndmask_b32_e64 v9, 0, v10, s[4:5]
	v_ldexp_f32 v10, v38, v39
	v_cmp_ngt_f32_e64 s[4:5], s55, v19
	v_add_f32_e32 v9, v18, v9
	v_trunc_f32_e32 v18, v53
	v_cndmask_b32_e64 v10, 0, v10, s[4:5]
	v_cmp_nlt_f32_e64 s[4:5], s53, v19
	s_nop 1
	v_cndmask_b32_e64 v10, v30, v10, s[4:5]
	v_fma_f32 v9, v10, v9, v10
	v_cmp_class_f32_e64 s[4:5], v10, s51
	s_nop 1
	v_cndmask_b32_e64 v9, v9, v10, s[4:5]
	v_cndmask_b32_e64 v10, v32, 1.0, vcc
	v_cmp_eq_f32_e32 vcc, v18, v53
	v_mul_f32_e32 v18, 0.5, v53
	v_trunc_f32_e32 v19, v18
	v_cmp_neq_f32_e64 s[4:5], v19, v18
	s_and_b64 s[4:5], vcc, s[4:5]
	s_nop 0
	v_cndmask_b32_e64 v18, 1.0, v10, s[4:5]
	v_bfi_b32 v9, s56, v9, v18
	v_cndmask_b32_e32 v18, v31, v9, vcc
	v_cmp_gt_f32_e32 vcc, 0, v10
	s_nop 1
	v_cndmask_b32_e32 v9, v9, v18, vcc
	v_cndmask_b32_e64 v18, |v52|, 1.0, s[2:3]
	v_cmp_neq_f32_e32 vcc, v53, v18
	s_xor_b64 s[6:7], vcc, s[6:7]
	v_cndmask_b32_e64 v19, v18, 0, s[6:7]
	v_cmp_eq_f32_e32 vcc, 1.0, v54
	v_cmp_eq_f32_e64 s[6:7], 0, v10
	s_xor_b64 s[8:9], s[8:9], s[6:7]
	v_cndmask_b32_e32 v19, v19, v54, vcc
	v_cmp_eq_f32_e32 vcc, s52, v18
	v_cndmask_b32_e64 v18, v30, 0, s[8:9]
	s_nop 0
	v_cndmask_b32_e32 v9, v9, v19, vcc
	v_cmp_eq_f32_e32 vcc, s52, v54
	v_cndmask_b32_e64 v19, 0, v10, s[4:5]
	v_bfi_b32 v18, s56, v18, v19
	s_or_b64 vcc, vcc, s[6:7]
	v_cndmask_b32_e32 v9, v9, v18, vcc
	v_div_scale_f32 v18, s[4:5], v9, v9, 1.0
	v_rcp_f32_e32 v19, v18
	s_nop 0
	v_fma_f32 v38, -v18, v19, 1.0
	v_fmac_f32_e32 v19, v38, v19
	v_div_scale_f32 v38, vcc, 1.0, v9, 1.0
	v_mul_f32_e32 v39, v38, v19
	v_fma_f32 v40, -v18, v39, v38
	v_fmac_f32_e32 v39, v40, v19
	v_fma_f32 v18, -v18, v39, v38
	v_div_fmas_f32 v18, v18, v19, v39
	v_div_fixup_f32 v9, v18, v9, 1.0
	v_cmp_o_f32_e32 vcc, v10, v10
	v_mov_b64_e32 v[18:19], v[16:17]
	v_mov_b32_e32 v38, v8
	v_cndmask_b32_e32 v9, v31, v9, vcc
	v_mul_f32_e32 v35, v35, v9
	v_fmac_f32_e32 v33, v37, v35
.LBB0_86:                               ;   in Loop: Header=BB0_87 Depth=2
	s_or_b64 exec, exec, s[46:47]
	v_add_u32_e32 v36, -1, v36
	s_add_i32 s58, s58, 52
	v_cmp_eq_u32_e32 vcc, 0, v36
	s_or_b64 s[42:43], vcc, s[42:43]
	s_andn2_b64 exec, exec, s[42:43]
	s_cbranch_execz .LBB0_94
.LBB0_87:                               ;   Parent Loop BB0_65 Depth=1
                                        ; =>  This Inner Loop Header: Depth=2
	s_add_i32 s4, s58, 12
	scratch_load_dword v8, off, s4
	s_waitcnt vmcnt(0)
	v_cmp_ge_i32_e32 vcc, v8, v7
	s_and_saveexec_b64 s[46:47], vcc
	s_cbranch_execz .LBB0_86
; %bb.88:                               ;   in Loop: Header=BB0_87 Depth=2
	s_add_i32 s4, s58, 48
	scratch_load_dword v37, off, s4
	scratch_load_dwordx3 v[8:10], off, s58
	s_waitcnt vmcnt(1)
	v_cmp_eq_f32_e32 vcc, -1.0, v37
	s_and_saveexec_b64 s[6:7], vcc
	s_cbranch_execz .LBB0_90
; %bb.89:                               ;   in Loop: Header=BB0_87 Depth=2
	s_add_i32 s4, s58, 32
	s_add_i32 s5, s58, 16
	scratch_load_dwordx3 v[40:42], off, s4
	scratch_load_dwordx3 v[44:46], off, s5
	s_waitcnt vmcnt(1)
	v_cmp_eq_u32_e32 vcc, 31, v41
	s_waitcnt vmcnt(0)
	v_cmp_gt_i32_e64 s[4:5], 30, v45
	v_not_b32_e32 v16, v44
	v_sub_u32_e32 v39, 30, v45
	s_and_b64 vcc, vcc, s[4:5]
	v_min_i32_e32 v17, 30, v41
	v_sub_u32_e32 v37, v42, v46
	v_addc_co_u32_e64 v40, s[4:5], v40, v16, vcc
	v_max_i32_e32 v16, 0, v39
	v_mul_lo_u32 v39, v40, 30
	v_cndmask_b32_e64 v40, v17, 1, vcc
	v_mad_u64_u32 v[16:17], s[4:5], v37, s33, v[16:17]
	v_add3_u32 v16, v16, v40, v39
	v_cvt_f32_i32_e32 v16, v16
	v_div_scale_f32 v17, s[4:5], s48, s48, v16
	v_rcp_f32_e32 v37, v17
	v_div_scale_f32 v39, vcc, v16, s48, v16
	v_fma_f32 v40, -v17, v37, 1.0
	v_fmac_f32_e32 v37, v40, v37
	v_mul_f32_e32 v40, v39, v37
	v_fma_f32 v41, -v17, v40, v39
	v_fmac_f32_e32 v40, v41, v37
	v_fma_f32 v17, -v17, v40, v39
	v_div_fmas_f32 v17, v17, v37, v40
	v_div_fixup_f32 v16, v17, s48, v16
	scratch_load_dword v17, off, off offset:1028 ; 4-byte Folded Reload
	s_waitcnt vmcnt(0)
	v_fma_f32 v16, v17, v16, 1.0
	v_add_f32_e32 v16, -1.0, v16
	v_mul_f32_e32 v37, 0x42c80000, v16
.LBB0_90:                               ;   in Loop: Header=BB0_87 Depth=2
	s_or_b64 exec, exec, s[6:7]
	s_xor_b64 s[4:5], s[44:45], -1
	s_waitcnt vmcnt(0)
	v_mov_b32_e32 v16, v9
	v_mov_b32_e32 v17, v10
	v_cmp_eq_u32_e32 vcc, 31, v9
	v_min_i32_e32 v9, 30, v9
                                        ; implicit-def: $vgpr39
	s_and_saveexec_b64 s[6:7], s[4:5]
	s_xor_b64 s[6:7], exec, s[6:7]
	s_cbranch_execz .LBB0_92
; %bb.91:                               ;   in Loop: Header=BB0_87 Depth=2
	v_cmp_gt_i32_e64 s[4:5], 30, v18
	s_and_b64 s[4:5], vcc, s[4:5]
	v_sub_u32_e32 v19, v10, v19
	v_cndmask_b32_e64 v39, 0, 1, s[4:5]
	v_not_b32_e32 v10, v38
	v_add3_u32 v10, v8, v10, v39
	v_mul_lo_u32 v38, v10, 30
	v_sub_u32_e32 v10, 30, v18
	v_max_i32_e32 v10, 0, v10
	v_cndmask_b32_e64 v9, v9, 1, s[4:5]
	v_mad_u64_u32 v[18:19], s[4:5], v19, s33, v[10:11]
	v_add3_u32 v39, v18, v9, v38
                                        ; implicit-def: $vgpr9
.LBB0_92:                               ;   in Loop: Header=BB0_87 Depth=2
	s_andn2_saveexec_b64 s[4:5], s[6:7]
	s_cbranch_execz .LBB0_85
; %bb.93:                               ;   in Loop: Header=BB0_87 Depth=2
	s_and_b64 s[6:7], vcc, s[0:1]
	v_cndmask_b32_e64 v18, 0, 1, s[6:7]
	v_sub_u32_e32 v10, v10, v6
	v_add3_u32 v18, v8, v22, v18
	v_mul_lo_u32 v38, v18, 30
	v_cndmask_b32_e64 v9, v9, 1, s[6:7]
	v_mad_u64_u32 v[18:19], s[6:7], v10, s33, v[4:5]
	v_add3_u32 v39, v18, v9, v38
	s_branch .LBB0_85
.LBB0_94:                               ;   in Loop: Header=BB0_65 Depth=1
	s_or_b64 exec, exec, s[42:43]
	v_sub_f32_e32 v35, v5, v33
	v_add_u32_e32 v9, 1, v23
	v_mov_b32_e32 v32, 1
.LBB0_95:                               ;   in Loop: Header=BB0_65 Depth=1
	s_or_b64 exec, exec, s[40:41]
	v_mov_b32_e32 v8, v28
	v_mov_b32_e32 v33, v24
.LBB0_96:                               ;   in Loop: Header=BB0_65 Depth=1
	s_or_b64 exec, exec, s[38:39]
.LBB0_97:                               ;   in Loop: Header=BB0_65 Depth=1
	s_andn2_saveexec_b64 s[36:37], s[36:37]
	s_cbranch_execz .LBB0_109
; %bb.98:                               ;   in Loop: Header=BB0_65 Depth=1
	v_sub_f32_e32 v8, v24, v11
	v_fmamk_f32 v33, v8, 0x3fcccccd, v24
	v_fma_f32 v34, v33, 0.5, 1.0
	v_readfirstlane_b32 s4, v26
	v_cmp_eq_f32_e64 s[2:3], 1.0, v34
	s_mov_b32 s44, s4
	s_mov_b64 s[40:41], -1
	s_mov_b64 s[38:39], 0
	v_mov_b32_e32 v35, 0
	v_mov_b32_e32 v36, 1.0
	v_mov_b32_e32 v37, v21
                                        ; implicit-def: $vgpr39
                                        ; implicit-def: $vgpr18_vgpr19
	s_branch .LBB0_101
.LBB0_99:                               ;   in Loop: Header=BB0_101 Depth=2
	s_or_b64 exec, exec, s[4:5]
	v_cvt_f32_i32_e32 v9, v40
	s_andn2_b64 s[40:41], s[40:41], exec
	v_div_scale_f32 v10, s[4:5], s48, s48, v9
	v_rcp_f32_e32 v18, v10
	v_div_scale_f32 v19, vcc, v9, s48, v9
	v_fma_f32 v39, -v10, v18, 1.0
	v_fmac_f32_e32 v18, v39, v18
	v_mul_f32_e32 v39, v19, v18
	v_fma_f32 v40, -v10, v39, v19
	v_fmac_f32_e32 v39, v40, v18
	v_fma_f32 v10, -v10, v39, v19
	v_div_fmas_f32 v10, v10, v18, v39
	v_div_fixup_f32 v9, v10, s48, v9
	v_add_f32_e32 v39, v9, v9
	v_cndmask_b32_e64 v54, v39, 1.0, s[2:3]
	v_cmp_eq_f32_e32 vcc, 0, v54
	v_cmp_gt_f32_e64 s[8:9], 0, v54
	s_nop 0
	v_cndmask_b32_e64 v55, |v34|, 1.0, vcc
	v_frexp_mant_f32_e32 v9, v55
	v_cmp_gt_f32_e64 s[4:5], s49, v9
	v_cmp_gt_f32_e64 s[6:7], 1.0, v55
	s_nop 0
	v_cndmask_b32_e64 v10, 1.0, 2.0, s[4:5]
	v_mul_f32_e32 v9, v9, v10
	v_add_f32_e32 v10, 1.0, v9
	v_rcp_f32_e32 v46, v10
	v_add_f32_e32 v19, -1.0, v9
	v_add_f32_e32 v18, -1.0, v10
	v_sub_f32_e32 v9, v9, v18
	v_mul_f32_e32 v47, v19, v46
	v_mul_f32_e32 v40, v10, v47
	v_fma_f32 v42, v47, v10, -v40
	v_fmac_f32_e32 v42, v47, v9
	v_add_f32_e32 v18, v40, v42
	v_sub_f32_e32 v41, v19, v18
	v_pk_add_f32 v[44:45], v[18:19], v[40:41] neg_lo:[0,1] neg_hi:[0,1]
	v_mov_b32_e32 v43, v18
	v_pk_add_f32 v[18:19], v[44:45], v[42:43] neg_lo:[0,1] neg_hi:[0,1]
	s_nop 0
	v_add_f32_e32 v9, v18, v19
	v_add_f32_e32 v9, v41, v9
	v_mul_f32_e32 v9, v46, v9
	v_add_f32_e32 v18, v47, v9
	v_sub_f32_e32 v10, v18, v47
	v_sub_f32_e32 v9, v9, v10
	v_mul_f32_e32 v10, v18, v18
	v_fma_f32 v19, v18, v18, -v10
	v_add_f32_e32 v40, v9, v9
	v_fmac_f32_e32 v19, v18, v40
	v_add_f32_e32 v40, v10, v19
	v_fmamk_f32 v41, v40, 0x3e76c4e1, v27
	v_fmaak_f32 v41, v40, v41, 0x3ecccdef
	v_sub_f32_e32 v10, v40, v10
	v_sub_f32_e32 v10, v19, v10
	v_mul_f32_e32 v19, v40, v41
	v_fma_f32 v42, v40, v41, -v19
	v_fmac_f32_e32 v42, v10, v41
	v_add_f32_e32 v41, v19, v42
	v_add_f32_e32 v43, 0x3f2aaaaa, v41
	v_sub_f32_e32 v19, v41, v19
	v_sub_f32_e32 v19, v42, v19
	v_add_f32_e32 v42, 0xbf2aaaaa, v43
	v_add_f32_e32 v19, 0x31739010, v19
	v_sub_f32_e32 v41, v41, v42
	v_pk_mul_f32 v[44:45], v[18:19], v[40:41]
	v_pk_add_f32 v[46:47], v[18:19], v[40:41]
	v_fma_f32 v42, v40, v18, -v44
	v_fmac_f32_e32 v42, v40, v9
	v_mov_b32_e32 v45, v47
	v_fmac_f32_e32 v42, v10, v18
	v_pk_add_f32 v[40:41], v[44:45], v[42:43]
	v_ldexp_f32 v9, v9, 1
	v_sub_f32_e32 v10, v40, v44
	v_sub_f32_e32 v19, v42, v10
	v_sub_f32_e32 v10, v43, v41
	v_add_f32_e32 v46, v47, v10
	v_mov_b32_e32 v10, v41
	v_cvt_f64_f32_e32 v[44:45], v55
	v_pk_mul_f32 v[42:43], v[40:41], v[10:11]
	v_frexp_exp_i32_f64_e32 v10, v[44:45]
	v_subbrev_co_u32_e64 v10, s[4:5], 0, v10, s[4:5]
	v_cvt_f32_i32_e32 v10, v10
	v_fma_f32 v44, v40, v41, -v42
	v_fmac_f32_e32 v44, v40, v46
	v_fmac_f32_e32 v44, v19, v41
	v_mul_f32_e32 v40, 0x3f317218, v10
	v_fma_f32 v46, v10, s50, -v40
	v_fmac_f32_e32 v46, 0xb102e308, v10
	v_ldexp_f32 v47, v18, 1
	v_add_f32_e32 v41, v42, v44
	v_pk_add_f32 v[18:19], v[40:41], v[46:47]
	v_mov_b32_e32 v48, v41
	v_mov_b32_e32 v49, v19
	;; [unrolled: 1-line block ×3, first 2 shown]
	v_pk_add_f32 v[42:43], v[48:49], v[42:43] neg_lo:[0,1] neg_hi:[0,1]
	v_mov_b32_e32 v45, v41
	v_pk_add_f32 v[42:43], v[44:45], v[42:43] neg_lo:[0,1] neg_hi:[0,1]
	v_mov_b32_e32 v47, v18
	v_add_f32_e32 v9, v9, v42
	v_add_f32_e32 v41, v9, v43
	v_pk_add_f32 v[42:43], v[18:19], v[40:41] neg_lo:[0,1] neg_hi:[0,1]
	v_pk_add_f32 v[44:45], v[18:19], v[40:41]
	v_mov_b32_e32 v48, v42
	v_mov_b32_e32 v49, v45
	v_pk_add_f32 v[48:49], v[46:47], v[48:49]
	v_pk_add_f32 v[42:43], v[46:47], v[42:43] neg_lo:[0,1] neg_hi:[0,1]
	v_mov_b32_e32 v10, v49
	v_pk_add_f32 v[50:51], v[10:11], v[18:19] neg_lo:[0,1] neg_hi:[0,1]
	v_mov_b32_e32 v48, v45
	v_mov_b32_e32 v9, v50
	;; [unrolled: 1-line block ×4, first 2 shown]
	v_pk_add_f32 v[52:53], v[44:45], v[8:9] neg_lo:[0,1] neg_hi:[0,1]
	v_pk_add_f32 v[18:19], v[48:49], v[18:19] neg_lo:[0,1] neg_hi:[0,1]
	v_mov_b32_e32 v46, v41
	v_pk_add_f32 v[18:19], v[46:47], v[18:19] neg_lo:[0,1] neg_hi:[0,1]
	v_mov_b32_e32 v52, v42
	v_pk_add_f32 v[40:41], v[52:53], v[18:19]
	v_mov_b32_e32 v43, v49
	v_mov_b32_e32 v44, v41
	v_pk_add_f32 v[44:45], v[40:41], v[44:45]
	s_nop 0
	v_pk_add_f32 v[46:47], v[10:11], v[44:45]
	v_mov_b32_e32 v19, v44
	v_mov_b32_e32 v41, v46
	v_pk_add_f32 v[48:49], v[40:41], v[42:43] neg_lo:[0,1] neg_hi:[0,1]
	s_nop 0
	v_sub_f32_e32 v9, v40, v48
	v_pk_add_f32 v[18:19], v[18:19], v[48:49] neg_lo:[0,1] neg_hi:[0,1]
	v_sub_f32_e32 v9, v42, v9
	v_add_f32_e32 v9, v18, v9
	v_add_f32_e32 v9, v9, v19
	;; [unrolled: 1-line block ×3, first 2 shown]
	v_sub_f32_e32 v18, v10, v46
	v_sub_f32_e32 v9, v9, v18
	v_mul_f32_e32 v18, v54, v10
	v_fma_f32 v10, v54, v10, -v18
	v_fmac_f32_e32 v10, v54, v9
	v_add_f32_e32 v9, v18, v10
	v_cmp_class_f32_e64 s[4:5], v18, s51
	v_sub_f32_e32 v19, v9, v18
	v_sub_f32_e32 v10, v10, v19
	v_cndmask_b32_e64 v9, v9, v18, s[4:5]
	v_cmp_eq_f32_e64 s[4:5], s53, v9
	s_nop 1
	v_cndmask_b32_e64 v18, 0, v29, s[4:5]
	v_sub_f32_e32 v19, v9, v18
	v_mul_f32_e32 v40, 0x3fb8aa3b, v19
	v_fma_f32 v41, v19, s54, -v40
	v_rndne_f32_e32 v42, v40
	v_fmac_f32_e32 v41, 0x32a5705f, v19
	v_sub_f32_e32 v40, v40, v42
	v_add_f32_e32 v40, v40, v41
	v_exp_f32_e32 v40, v40
	v_cvt_i32_f32_e32 v41, v42
	v_cmp_neq_f32_e64 s[4:5], |v9|, s52
	s_nop 1
	v_cndmask_b32_e64 v9, 0, v10, s[4:5]
	v_ldexp_f32 v10, v40, v41
	v_cmp_ngt_f32_e64 s[4:5], s55, v19
	v_add_f32_e32 v9, v18, v9
	v_trunc_f32_e32 v18, v54
	v_cndmask_b32_e64 v10, 0, v10, s[4:5]
	v_cmp_nlt_f32_e64 s[4:5], s53, v19
	s_nop 1
	v_cndmask_b32_e64 v10, v30, v10, s[4:5]
	v_fma_f32 v9, v10, v9, v10
	v_cmp_class_f32_e64 s[4:5], v10, s51
	s_nop 1
	v_cndmask_b32_e64 v9, v9, v10, s[4:5]
	v_cndmask_b32_e64 v10, v34, 1.0, vcc
	v_cmp_eq_f32_e32 vcc, v18, v54
	v_mul_f32_e32 v18, 0.5, v54
	v_trunc_f32_e32 v19, v18
	v_cmp_neq_f32_e64 s[4:5], v19, v18
	s_and_b64 s[4:5], vcc, s[4:5]
	s_nop 0
	v_cndmask_b32_e64 v18, 1.0, v10, s[4:5]
	v_bfi_b32 v9, s56, v9, v18
	v_cndmask_b32_e32 v18, v31, v9, vcc
	v_cmp_gt_f32_e32 vcc, 0, v10
	s_nop 1
	v_cndmask_b32_e32 v9, v9, v18, vcc
	v_cndmask_b32_e64 v18, |v39|, 1.0, s[2:3]
	v_cmp_neq_f32_e32 vcc, v54, v18
	s_xor_b64 s[6:7], vcc, s[6:7]
	v_cndmask_b32_e64 v19, v18, 0, s[6:7]
	v_cmp_eq_f32_e32 vcc, 1.0, v55
	v_cmp_eq_f32_e64 s[6:7], 0, v10
	s_xor_b64 s[8:9], s[8:9], s[6:7]
	v_cndmask_b32_e32 v19, v19, v55, vcc
	v_cmp_eq_f32_e32 vcc, s52, v18
	v_cndmask_b32_e64 v18, v30, 0, s[8:9]
	s_nop 0
	v_cndmask_b32_e32 v9, v9, v19, vcc
	v_cmp_eq_f32_e32 vcc, s52, v55
	v_cndmask_b32_e64 v19, 0, v10, s[4:5]
	v_bfi_b32 v18, s56, v18, v19
	s_or_b64 vcc, vcc, s[6:7]
	v_cndmask_b32_e32 v9, v9, v18, vcc
	v_div_scale_f32 v18, s[4:5], v9, v9, 1.0
	v_rcp_f32_e32 v19, v18
	s_nop 0
	v_fma_f32 v39, -v18, v19, 1.0
	v_fmac_f32_e32 v19, v39, v19
	v_div_scale_f32 v39, vcc, 1.0, v9, 1.0
	v_mul_f32_e32 v40, v39, v19
	v_fma_f32 v41, -v18, v40, v39
	v_fmac_f32_e32 v40, v41, v19
	v_fma_f32 v18, -v18, v40, v39
	v_div_fmas_f32 v18, v18, v19, v40
	v_div_fixup_f32 v9, v18, v9, 1.0
	v_cmp_o_f32_e32 vcc, v10, v10
	v_mov_b64_e32 v[18:19], v[16:17]
	v_mov_b32_e32 v39, v8
	v_cndmask_b32_e32 v9, v31, v9, vcc
	v_mul_f32_e32 v36, v36, v9
	v_fmac_f32_e32 v35, v38, v36
.LBB0_100:                              ;   in Loop: Header=BB0_101 Depth=2
	s_or_b64 exec, exec, s[42:43]
	v_add_u32_e32 v37, -1, v37
	s_add_i32 s44, s44, 52
	v_cmp_eq_u32_e32 vcc, 0, v37
	s_or_b64 s[38:39], vcc, s[38:39]
	s_andn2_b64 exec, exec, s[38:39]
	s_cbranch_execz .LBB0_108
.LBB0_101:                              ;   Parent Loop BB0_65 Depth=1
                                        ; =>  This Inner Loop Header: Depth=2
	s_add_i32 s4, s44, 12
	scratch_load_dword v8, off, s4
	s_waitcnt vmcnt(0)
	v_cmp_ge_i32_e32 vcc, v8, v7
	s_and_saveexec_b64 s[42:43], vcc
	s_cbranch_execz .LBB0_100
; %bb.102:                              ;   in Loop: Header=BB0_101 Depth=2
	s_add_i32 s4, s44, 48
	scratch_load_dword v38, off, s4
	scratch_load_dwordx3 v[8:10], off, s44
	s_waitcnt vmcnt(1)
	v_cmp_eq_f32_e32 vcc, -1.0, v38
	s_and_saveexec_b64 s[6:7], vcc
	s_cbranch_execz .LBB0_104
; %bb.103:                              ;   in Loop: Header=BB0_101 Depth=2
	s_add_i32 s4, s44, 32
	s_add_i32 s5, s44, 16
	scratch_load_dwordx3 v[40:42], off, s4
	scratch_load_dwordx3 v[44:46], off, s5
	s_waitcnt vmcnt(1)
	v_cmp_eq_u32_e32 vcc, 31, v41
	s_waitcnt vmcnt(0)
	v_cmp_gt_i32_e64 s[4:5], 30, v45
	v_min_i32_e32 v17, 30, v41
	v_not_b32_e32 v16, v44
	v_sub_u32_e32 v41, 30, v45
	s_and_b64 vcc, vcc, s[4:5]
	v_sub_u32_e32 v38, v42, v46
	v_addc_co_u32_e64 v40, s[4:5], v40, v16, vcc
	v_max_i32_e32 v16, 0, v41
	v_mul_lo_u32 v40, v40, 30
	v_cndmask_b32_e64 v41, v17, 1, vcc
	v_mad_u64_u32 v[16:17], s[4:5], v38, s33, v[16:17]
	v_add3_u32 v16, v16, v41, v40
	v_cvt_f32_i32_e32 v16, v16
	v_div_scale_f32 v17, s[4:5], s48, s48, v16
	v_rcp_f32_e32 v38, v17
	v_div_scale_f32 v40, vcc, v16, s48, v16
	v_fma_f32 v41, -v17, v38, 1.0
	v_fmac_f32_e32 v38, v41, v38
	v_mul_f32_e32 v41, v40, v38
	v_fma_f32 v42, -v17, v41, v40
	v_fmac_f32_e32 v41, v42, v38
	v_fma_f32 v17, -v17, v41, v40
	v_div_fmas_f32 v17, v17, v38, v41
	v_div_fixup_f32 v16, v17, s48, v16
	scratch_load_dword v17, off, off offset:1028 ; 4-byte Folded Reload
	s_waitcnt vmcnt(0)
	v_fma_f32 v16, v17, v16, 1.0
	v_add_f32_e32 v16, -1.0, v16
	v_mul_f32_e32 v38, 0x42c80000, v16
.LBB0_104:                              ;   in Loop: Header=BB0_101 Depth=2
	s_or_b64 exec, exec, s[6:7]
	s_xor_b64 s[4:5], s[40:41], -1
	s_waitcnt vmcnt(0)
	v_mov_b32_e32 v16, v9
	v_mov_b32_e32 v17, v10
	v_cmp_eq_u32_e32 vcc, 31, v9
	v_min_i32_e32 v9, 30, v9
                                        ; implicit-def: $vgpr40
	s_and_saveexec_b64 s[6:7], s[4:5]
	s_xor_b64 s[6:7], exec, s[6:7]
	s_cbranch_execz .LBB0_106
; %bb.105:                              ;   in Loop: Header=BB0_101 Depth=2
	v_cmp_gt_i32_e64 s[4:5], 30, v18
	s_and_b64 s[4:5], vcc, s[4:5]
	v_not_b32_e32 v39, v39
	v_cndmask_b32_e64 v40, 0, 1, s[4:5]
	v_sub_u32_e32 v18, 30, v18
	v_sub_u32_e32 v19, v10, v19
	v_add3_u32 v39, v8, v39, v40
	v_max_i32_e32 v18, 0, v18
	v_mul_lo_u32 v39, v39, 30
	v_cndmask_b32_e64 v9, v9, 1, s[4:5]
	v_mad_u64_u32 v[18:19], s[4:5], v19, s33, v[18:19]
	v_add3_u32 v40, v18, v9, v39
                                        ; implicit-def: $vgpr9
.LBB0_106:                              ;   in Loop: Header=BB0_101 Depth=2
	s_andn2_saveexec_b64 s[4:5], s[6:7]
	s_cbranch_execz .LBB0_99
; %bb.107:                              ;   in Loop: Header=BB0_101 Depth=2
	s_and_b64 s[6:7], vcc, s[0:1]
	v_cndmask_b32_e64 v18, 0, 1, s[6:7]
	v_sub_u32_e32 v10, v10, v6
	v_add3_u32 v18, v8, v22, v18
	v_mul_lo_u32 v39, v18, 30
	v_cndmask_b32_e64 v9, v9, 1, s[6:7]
	v_mad_u64_u32 v[18:19], s[6:7], v10, s33, v[4:5]
	v_add3_u32 v40, v18, v9, v39
	s_branch .LBB0_99
.LBB0_108:                              ;   in Loop: Header=BB0_65 Depth=1
	s_or_b64 exec, exec, s[38:39]
	v_sub_f32_e32 v8, v5, v35
	v_mov_b32_e32 v9, v23
	v_mov_b32_e32 v35, v25
	v_mov_b32_e32 v34, v11
.LBB0_109:                              ;   in Loop: Header=BB0_65 Depth=1
	s_or_b64 exec, exec, s[36:37]
.LBB0_110:                              ;   in Loop: Header=BB0_65 Depth=1
	s_andn2_saveexec_b64 s[34:35], s[34:35]
	s_cbranch_execz .LBB0_63
; %bb.111:                              ;   in Loop: Header=BB0_65 Depth=1
	v_sub_f32_e32 v8, v11, v24
	v_fmamk_f32 v34, v8, 0x3fcccccd, v11
	v_fma_f32 v33, v34, 0.5, 1.0
	v_readfirstlane_b32 s4, v26
	v_cmp_eq_f32_e64 s[2:3], 1.0, v33
	s_mov_b32 s42, s4
	s_mov_b64 s[38:39], -1
	s_mov_b64 s[36:37], 0
	v_mov_b32_e32 v35, 0
	v_mov_b32_e32 v36, 1.0
	v_mov_b32_e32 v37, v21
                                        ; implicit-def: $vgpr39
                                        ; implicit-def: $vgpr18_vgpr19
	s_branch .LBB0_114
.LBB0_112:                              ;   in Loop: Header=BB0_114 Depth=2
	s_or_b64 exec, exec, s[4:5]
	v_cvt_f32_i32_e32 v9, v40
	s_andn2_b64 s[38:39], s[38:39], exec
	v_div_scale_f32 v10, s[4:5], s48, s48, v9
	v_rcp_f32_e32 v18, v10
	v_div_scale_f32 v19, vcc, v9, s48, v9
	v_fma_f32 v39, -v10, v18, 1.0
	v_fmac_f32_e32 v18, v39, v18
	v_mul_f32_e32 v39, v19, v18
	v_fma_f32 v40, -v10, v39, v19
	v_fmac_f32_e32 v39, v40, v18
	v_fma_f32 v10, -v10, v39, v19
	v_div_fmas_f32 v10, v10, v18, v39
	v_div_fixup_f32 v9, v10, s48, v9
	v_add_f32_e32 v39, v9, v9
	v_cndmask_b32_e64 v54, v39, 1.0, s[2:3]
	v_cmp_eq_f32_e32 vcc, 0, v54
	v_cmp_gt_f32_e64 s[8:9], 0, v54
	s_nop 0
	v_cndmask_b32_e64 v55, |v33|, 1.0, vcc
	v_frexp_mant_f32_e32 v9, v55
	v_cmp_gt_f32_e64 s[4:5], s49, v9
	v_cmp_gt_f32_e64 s[6:7], 1.0, v55
	s_nop 0
	v_cndmask_b32_e64 v10, 1.0, 2.0, s[4:5]
	v_mul_f32_e32 v9, v9, v10
	v_add_f32_e32 v10, 1.0, v9
	v_rcp_f32_e32 v46, v10
	v_add_f32_e32 v19, -1.0, v9
	v_add_f32_e32 v18, -1.0, v10
	v_sub_f32_e32 v9, v9, v18
	v_mul_f32_e32 v47, v19, v46
	v_mul_f32_e32 v40, v10, v47
	v_fma_f32 v42, v47, v10, -v40
	v_fmac_f32_e32 v42, v47, v9
	v_add_f32_e32 v18, v40, v42
	v_sub_f32_e32 v41, v19, v18
	v_pk_add_f32 v[44:45], v[18:19], v[40:41] neg_lo:[0,1] neg_hi:[0,1]
	v_mov_b32_e32 v43, v18
	v_pk_add_f32 v[18:19], v[44:45], v[42:43] neg_lo:[0,1] neg_hi:[0,1]
	s_nop 0
	v_add_f32_e32 v9, v18, v19
	v_add_f32_e32 v9, v41, v9
	v_mul_f32_e32 v9, v46, v9
	v_add_f32_e32 v18, v47, v9
	v_sub_f32_e32 v10, v18, v47
	v_sub_f32_e32 v9, v9, v10
	v_mul_f32_e32 v10, v18, v18
	v_fma_f32 v19, v18, v18, -v10
	v_add_f32_e32 v40, v9, v9
	v_fmac_f32_e32 v19, v18, v40
	v_add_f32_e32 v40, v10, v19
	v_fmamk_f32 v41, v40, 0x3e76c4e1, v27
	v_fmaak_f32 v41, v40, v41, 0x3ecccdef
	v_sub_f32_e32 v10, v40, v10
	v_sub_f32_e32 v10, v19, v10
	v_mul_f32_e32 v19, v40, v41
	v_fma_f32 v42, v40, v41, -v19
	v_fmac_f32_e32 v42, v10, v41
	v_add_f32_e32 v41, v19, v42
	v_add_f32_e32 v43, 0x3f2aaaaa, v41
	v_sub_f32_e32 v19, v41, v19
	v_sub_f32_e32 v19, v42, v19
	v_add_f32_e32 v42, 0xbf2aaaaa, v43
	v_add_f32_e32 v19, 0x31739010, v19
	v_sub_f32_e32 v41, v41, v42
	v_pk_mul_f32 v[44:45], v[18:19], v[40:41]
	v_pk_add_f32 v[46:47], v[18:19], v[40:41]
	v_fma_f32 v42, v40, v18, -v44
	v_fmac_f32_e32 v42, v40, v9
	v_mov_b32_e32 v45, v47
	v_fmac_f32_e32 v42, v10, v18
	v_pk_add_f32 v[40:41], v[44:45], v[42:43]
	v_ldexp_f32 v9, v9, 1
	v_sub_f32_e32 v10, v40, v44
	v_sub_f32_e32 v19, v42, v10
	v_sub_f32_e32 v10, v43, v41
	v_add_f32_e32 v46, v47, v10
	v_mov_b32_e32 v10, v41
	v_cvt_f64_f32_e32 v[44:45], v55
	v_pk_mul_f32 v[42:43], v[40:41], v[10:11]
	v_frexp_exp_i32_f64_e32 v10, v[44:45]
	v_subbrev_co_u32_e64 v10, s[4:5], 0, v10, s[4:5]
	v_cvt_f32_i32_e32 v10, v10
	v_fma_f32 v44, v40, v41, -v42
	v_fmac_f32_e32 v44, v40, v46
	v_fmac_f32_e32 v44, v19, v41
	v_mul_f32_e32 v40, 0x3f317218, v10
	v_fma_f32 v46, v10, s50, -v40
	v_fmac_f32_e32 v46, 0xb102e308, v10
	v_ldexp_f32 v47, v18, 1
	v_add_f32_e32 v41, v42, v44
	v_pk_add_f32 v[18:19], v[40:41], v[46:47]
	v_mov_b32_e32 v48, v41
	v_mov_b32_e32 v49, v19
	v_mov_b32_e32 v43, v47
	v_pk_add_f32 v[42:43], v[48:49], v[42:43] neg_lo:[0,1] neg_hi:[0,1]
	v_mov_b32_e32 v45, v41
	v_pk_add_f32 v[42:43], v[44:45], v[42:43] neg_lo:[0,1] neg_hi:[0,1]
	v_mov_b32_e32 v47, v18
	v_add_f32_e32 v9, v9, v42
	v_add_f32_e32 v41, v9, v43
	v_pk_add_f32 v[42:43], v[18:19], v[40:41] neg_lo:[0,1] neg_hi:[0,1]
	v_pk_add_f32 v[44:45], v[18:19], v[40:41]
	v_mov_b32_e32 v48, v42
	v_mov_b32_e32 v49, v45
	v_pk_add_f32 v[48:49], v[46:47], v[48:49]
	v_pk_add_f32 v[42:43], v[46:47], v[42:43] neg_lo:[0,1] neg_hi:[0,1]
	v_mov_b32_e32 v10, v49
	v_pk_add_f32 v[50:51], v[10:11], v[18:19] neg_lo:[0,1] neg_hi:[0,1]
	v_mov_b32_e32 v48, v45
	v_mov_b32_e32 v9, v50
	;; [unrolled: 1-line block ×4, first 2 shown]
	v_pk_add_f32 v[52:53], v[44:45], v[8:9] neg_lo:[0,1] neg_hi:[0,1]
	v_pk_add_f32 v[18:19], v[48:49], v[18:19] neg_lo:[0,1] neg_hi:[0,1]
	v_mov_b32_e32 v46, v41
	v_pk_add_f32 v[18:19], v[46:47], v[18:19] neg_lo:[0,1] neg_hi:[0,1]
	v_mov_b32_e32 v52, v42
	v_pk_add_f32 v[40:41], v[52:53], v[18:19]
	v_mov_b32_e32 v43, v49
	v_mov_b32_e32 v44, v41
	v_pk_add_f32 v[44:45], v[40:41], v[44:45]
	s_nop 0
	v_pk_add_f32 v[46:47], v[10:11], v[44:45]
	v_mov_b32_e32 v19, v44
	v_mov_b32_e32 v41, v46
	v_pk_add_f32 v[48:49], v[40:41], v[42:43] neg_lo:[0,1] neg_hi:[0,1]
	s_nop 0
	v_sub_f32_e32 v9, v40, v48
	v_pk_add_f32 v[18:19], v[18:19], v[48:49] neg_lo:[0,1] neg_hi:[0,1]
	v_sub_f32_e32 v9, v42, v9
	v_add_f32_e32 v9, v18, v9
	v_add_f32_e32 v9, v9, v19
	v_add_f32_e32 v10, v46, v9
	v_sub_f32_e32 v18, v10, v46
	v_sub_f32_e32 v9, v9, v18
	v_mul_f32_e32 v18, v54, v10
	v_fma_f32 v10, v54, v10, -v18
	v_fmac_f32_e32 v10, v54, v9
	v_add_f32_e32 v9, v18, v10
	v_cmp_class_f32_e64 s[4:5], v18, s51
	v_sub_f32_e32 v19, v9, v18
	v_sub_f32_e32 v10, v10, v19
	v_cndmask_b32_e64 v9, v9, v18, s[4:5]
	v_cmp_eq_f32_e64 s[4:5], s53, v9
	s_nop 1
	v_cndmask_b32_e64 v18, 0, v29, s[4:5]
	v_sub_f32_e32 v19, v9, v18
	v_mul_f32_e32 v40, 0x3fb8aa3b, v19
	v_fma_f32 v41, v19, s54, -v40
	v_rndne_f32_e32 v42, v40
	v_fmac_f32_e32 v41, 0x32a5705f, v19
	v_sub_f32_e32 v40, v40, v42
	v_add_f32_e32 v40, v40, v41
	v_exp_f32_e32 v40, v40
	v_cvt_i32_f32_e32 v41, v42
	v_cmp_neq_f32_e64 s[4:5], |v9|, s52
	s_nop 1
	v_cndmask_b32_e64 v9, 0, v10, s[4:5]
	v_ldexp_f32 v10, v40, v41
	v_cmp_ngt_f32_e64 s[4:5], s55, v19
	v_add_f32_e32 v9, v18, v9
	v_trunc_f32_e32 v18, v54
	v_cndmask_b32_e64 v10, 0, v10, s[4:5]
	v_cmp_nlt_f32_e64 s[4:5], s53, v19
	s_nop 1
	v_cndmask_b32_e64 v10, v30, v10, s[4:5]
	v_fma_f32 v9, v10, v9, v10
	v_cmp_class_f32_e64 s[4:5], v10, s51
	s_nop 1
	v_cndmask_b32_e64 v9, v9, v10, s[4:5]
	v_cndmask_b32_e64 v10, v33, 1.0, vcc
	v_cmp_eq_f32_e32 vcc, v18, v54
	v_mul_f32_e32 v18, 0.5, v54
	v_trunc_f32_e32 v19, v18
	v_cmp_neq_f32_e64 s[4:5], v19, v18
	s_and_b64 s[4:5], vcc, s[4:5]
	s_nop 0
	v_cndmask_b32_e64 v18, 1.0, v10, s[4:5]
	v_bfi_b32 v9, s56, v9, v18
	v_cndmask_b32_e32 v18, v31, v9, vcc
	v_cmp_gt_f32_e32 vcc, 0, v10
	s_nop 1
	v_cndmask_b32_e32 v9, v9, v18, vcc
	v_cndmask_b32_e64 v18, |v39|, 1.0, s[2:3]
	v_cmp_neq_f32_e32 vcc, v54, v18
	s_xor_b64 s[6:7], vcc, s[6:7]
	v_cndmask_b32_e64 v19, v18, 0, s[6:7]
	v_cmp_eq_f32_e32 vcc, 1.0, v55
	v_cmp_eq_f32_e64 s[6:7], 0, v10
	s_xor_b64 s[8:9], s[8:9], s[6:7]
	v_cndmask_b32_e32 v19, v19, v55, vcc
	v_cmp_eq_f32_e32 vcc, s52, v18
	v_cndmask_b32_e64 v18, v30, 0, s[8:9]
	s_nop 0
	v_cndmask_b32_e32 v9, v9, v19, vcc
	v_cmp_eq_f32_e32 vcc, s52, v55
	v_cndmask_b32_e64 v19, 0, v10, s[4:5]
	v_bfi_b32 v18, s56, v18, v19
	s_or_b64 vcc, vcc, s[6:7]
	v_cndmask_b32_e32 v9, v9, v18, vcc
	v_div_scale_f32 v18, s[4:5], v9, v9, 1.0
	v_rcp_f32_e32 v19, v18
	s_nop 0
	v_fma_f32 v39, -v18, v19, 1.0
	v_fmac_f32_e32 v19, v39, v19
	v_div_scale_f32 v39, vcc, 1.0, v9, 1.0
	v_mul_f32_e32 v40, v39, v19
	v_fma_f32 v41, -v18, v40, v39
	v_fmac_f32_e32 v40, v41, v19
	v_fma_f32 v18, -v18, v40, v39
	v_div_fmas_f32 v18, v18, v19, v40
	v_div_fixup_f32 v9, v18, v9, 1.0
	v_cmp_o_f32_e32 vcc, v10, v10
	v_mov_b64_e32 v[18:19], v[16:17]
	v_mov_b32_e32 v39, v8
	v_cndmask_b32_e32 v9, v31, v9, vcc
	v_mul_f32_e32 v36, v36, v9
	v_fmac_f32_e32 v35, v38, v36
.LBB0_113:                              ;   in Loop: Header=BB0_114 Depth=2
	s_or_b64 exec, exec, s[40:41]
	v_add_u32_e32 v37, -1, v37
	s_add_i32 s42, s42, 52
	v_cmp_eq_u32_e32 vcc, 0, v37
	s_or_b64 s[36:37], vcc, s[36:37]
	s_andn2_b64 exec, exec, s[36:37]
	s_cbranch_execz .LBB0_62
.LBB0_114:                              ;   Parent Loop BB0_65 Depth=1
                                        ; =>  This Inner Loop Header: Depth=2
	s_add_i32 s4, s42, 12
	scratch_load_dword v8, off, s4
	s_waitcnt vmcnt(0)
	v_cmp_ge_i32_e32 vcc, v8, v7
	s_and_saveexec_b64 s[40:41], vcc
	s_cbranch_execz .LBB0_113
; %bb.115:                              ;   in Loop: Header=BB0_114 Depth=2
	s_add_i32 s4, s42, 48
	scratch_load_dword v38, off, s4
	scratch_load_dwordx3 v[8:10], off, s42
	s_waitcnt vmcnt(1)
	v_cmp_eq_f32_e32 vcc, -1.0, v38
	s_and_saveexec_b64 s[6:7], vcc
	s_cbranch_execz .LBB0_117
; %bb.116:                              ;   in Loop: Header=BB0_114 Depth=2
	s_add_i32 s4, s42, 32
	s_add_i32 s5, s42, 16
	scratch_load_dwordx3 v[40:42], off, s4
	scratch_load_dwordx3 v[44:46], off, s5
	s_waitcnt vmcnt(1)
	v_cmp_eq_u32_e32 vcc, 31, v41
	s_waitcnt vmcnt(0)
	v_cmp_gt_i32_e64 s[4:5], 30, v45
	v_min_i32_e32 v17, 30, v41
	v_not_b32_e32 v16, v44
	v_sub_u32_e32 v41, 30, v45
	s_and_b64 vcc, vcc, s[4:5]
	v_sub_u32_e32 v38, v42, v46
	v_addc_co_u32_e64 v40, s[4:5], v40, v16, vcc
	v_max_i32_e32 v16, 0, v41
	v_mul_lo_u32 v40, v40, 30
	v_cndmask_b32_e64 v41, v17, 1, vcc
	v_mad_u64_u32 v[16:17], s[4:5], v38, s33, v[16:17]
	v_add3_u32 v16, v16, v41, v40
	v_cvt_f32_i32_e32 v16, v16
	v_div_scale_f32 v17, s[4:5], s48, s48, v16
	v_rcp_f32_e32 v38, v17
	v_div_scale_f32 v40, vcc, v16, s48, v16
	v_fma_f32 v41, -v17, v38, 1.0
	v_fmac_f32_e32 v38, v41, v38
	v_mul_f32_e32 v41, v40, v38
	v_fma_f32 v42, -v17, v41, v40
	v_fmac_f32_e32 v41, v42, v38
	v_fma_f32 v17, -v17, v41, v40
	v_div_fmas_f32 v17, v17, v38, v41
	v_div_fixup_f32 v16, v17, s48, v16
	scratch_load_dword v17, off, off offset:1028 ; 4-byte Folded Reload
	s_waitcnt vmcnt(0)
	v_fma_f32 v16, v17, v16, 1.0
	v_add_f32_e32 v16, -1.0, v16
	v_mul_f32_e32 v38, 0x42c80000, v16
.LBB0_117:                              ;   in Loop: Header=BB0_114 Depth=2
	s_or_b64 exec, exec, s[6:7]
	s_xor_b64 s[4:5], s[38:39], -1
	s_waitcnt vmcnt(0)
	v_mov_b32_e32 v16, v9
	v_mov_b32_e32 v17, v10
	v_cmp_eq_u32_e32 vcc, 31, v9
	v_min_i32_e32 v9, 30, v9
                                        ; implicit-def: $vgpr40
	s_and_saveexec_b64 s[6:7], s[4:5]
	s_xor_b64 s[6:7], exec, s[6:7]
	s_cbranch_execz .LBB0_119
; %bb.118:                              ;   in Loop: Header=BB0_114 Depth=2
	v_cmp_gt_i32_e64 s[4:5], 30, v18
	s_and_b64 s[4:5], vcc, s[4:5]
	v_not_b32_e32 v39, v39
	v_cndmask_b32_e64 v40, 0, 1, s[4:5]
	v_sub_u32_e32 v18, 30, v18
	v_sub_u32_e32 v19, v10, v19
	v_add3_u32 v39, v8, v39, v40
	v_max_i32_e32 v18, 0, v18
	v_mul_lo_u32 v39, v39, 30
	v_cndmask_b32_e64 v9, v9, 1, s[4:5]
	v_mad_u64_u32 v[18:19], s[4:5], v19, s33, v[18:19]
	v_add3_u32 v40, v18, v9, v39
                                        ; implicit-def: $vgpr9
.LBB0_119:                              ;   in Loop: Header=BB0_114 Depth=2
	s_andn2_saveexec_b64 s[4:5], s[6:7]
	s_cbranch_execz .LBB0_112
; %bb.120:                              ;   in Loop: Header=BB0_114 Depth=2
	s_and_b64 s[6:7], vcc, s[0:1]
	v_cndmask_b32_e64 v18, 0, 1, s[6:7]
	v_sub_u32_e32 v10, v10, v6
	v_add3_u32 v18, v8, v22, v18
	v_mul_lo_u32 v39, v18, 30
	v_cndmask_b32_e64 v9, v9, 1, s[6:7]
	v_mad_u64_u32 v[18:19], s[6:7], v10, s33, v[4:5]
	v_add3_u32 v40, v18, v9, v39
	s_branch .LBB0_112
.LBB0_121:
	s_or_b64 exec, exec, s[22:23]
	s_and_saveexec_b64 s[2:3], s[24:25]
	s_xor_b64 s[22:23], exec, s[2:3]
	s_cbranch_execz .LBB0_173
; %bb.122:
	s_mov_b32 s2, 0x2441b0da
	v_mul_f32_e64 v8, |v25|, s2
	v_cmp_nle_f32_e64 s[4:5], |v25|, v8
	v_cmp_neq_f32_e32 vcc, 0, v25
	s_or_b64 s[4:5], vcc, s[4:5]
	s_and_saveexec_b64 s[24:25], s[4:5]
	s_cbranch_execz .LBB0_172
; %bb.123:
	v_mul_f32_e64 v8, |v28|, s2
	v_cmp_nle_f32_e64 s[2:3], |v28|, v8
	v_cmp_neq_f32_e32 vcc, 0, v28
	s_or_b64 s[2:3], vcc, s[2:3]
	s_and_saveexec_b64 s[26:27], s[2:3]
	s_cbranch_execz .LBB0_171
; %bb.124:
	v_add_f32_e32 v8, v24, v11
	v_mul_f32_e32 v26, 0.5, v8
	v_fma_f32 v28, v26, 0.5, 1.0
	v_mov_b32_e32 v29, 1.0
	v_cmp_eq_f32_e64 s[2:3], 1.0, v28
	s_movk_i32 s33, 0x230
	s_mov_b64 s[28:29], -1
	s_mov_b32 s36, -1
	s_mov_b64 s[30:31], 0
	v_mov_b32_e32 v27, 0
	s_movk_i32 s37, 0x168
	s_mov_b32 s38, 0x43b40000
	s_mov_b32 s39, 0x3f2aaaab
	v_mov_b32_e32 v30, 0x3e91f4c4
	s_mov_b32 s40, 0x3f317218
	s_movk_i32 s41, 0x204
	s_mov_b32 s42, 0x7f800000
	s_mov_b32 s43, 0x42b17218
	;; [unrolled: 1-line block ×4, first 2 shown]
	s_brev_b32 s46, -2
	v_mov_b32_e32 v31, 0x37000000
	v_mov_b32_e32 v32, 0x7f800000
	;; [unrolled: 1-line block ×3, first 2 shown]
                                        ; implicit-def: $vgpr8
                                        ; implicit-def: $vgpr35
                                        ; implicit-def: $vgpr18_vgpr19
	s_branch .LBB0_127
.LBB0_125:                              ;   in Loop: Header=BB0_127 Depth=1
	s_or_b64 exec, exec, s[4:5]
	v_cvt_f32_i32_e32 v9, v36
	s_andn2_b64 s[28:29], s[28:29], exec
	v_div_scale_f32 v10, s[4:5], s38, s38, v9
	v_rcp_f32_e32 v18, v10
	v_div_scale_f32 v19, vcc, v9, s38, v9
	v_fma_f32 v35, -v10, v18, 1.0
	v_fmac_f32_e32 v18, v35, v18
	v_mul_f32_e32 v35, v19, v18
	v_fma_f32 v36, -v10, v35, v19
	v_fmac_f32_e32 v35, v36, v18
	v_fma_f32 v10, -v10, v35, v19
	v_div_fmas_f32 v10, v10, v18, v35
	v_div_fixup_f32 v9, v10, s38, v9
	v_add_f32_e32 v35, v9, v9
	v_cndmask_b32_e64 v50, v35, 1.0, s[2:3]
	v_cmp_eq_f32_e32 vcc, 0, v50
	v_cmp_gt_f32_e64 s[8:9], 0, v50
	s_nop 0
	v_cndmask_b32_e64 v51, |v28|, 1.0, vcc
	v_frexp_mant_f32_e32 v9, v51
	v_cmp_gt_f32_e64 s[4:5], s39, v9
	v_cmp_gt_f32_e64 s[6:7], 1.0, v51
	s_nop 0
	v_cndmask_b32_e64 v10, 1.0, 2.0, s[4:5]
	v_mul_f32_e32 v9, v9, v10
	v_add_f32_e32 v10, 1.0, v9
	v_rcp_f32_e32 v42, v10
	v_add_f32_e32 v19, -1.0, v9
	v_add_f32_e32 v18, -1.0, v10
	v_sub_f32_e32 v9, v9, v18
	v_mul_f32_e32 v43, v19, v42
	v_mul_f32_e32 v36, v10, v43
	v_fma_f32 v38, v43, v10, -v36
	v_fmac_f32_e32 v38, v43, v9
	v_add_f32_e32 v18, v36, v38
	v_sub_f32_e32 v37, v19, v18
	v_pk_add_f32 v[40:41], v[18:19], v[36:37] neg_lo:[0,1] neg_hi:[0,1]
	v_mov_b32_e32 v39, v18
	v_pk_add_f32 v[18:19], v[40:41], v[38:39] neg_lo:[0,1] neg_hi:[0,1]
	s_nop 0
	v_add_f32_e32 v9, v18, v19
	v_add_f32_e32 v9, v37, v9
	v_mul_f32_e32 v9, v42, v9
	v_add_f32_e32 v18, v43, v9
	v_sub_f32_e32 v10, v18, v43
	v_sub_f32_e32 v9, v9, v10
	v_mul_f32_e32 v10, v18, v18
	v_fma_f32 v19, v18, v18, -v10
	v_add_f32_e32 v36, v9, v9
	v_fmac_f32_e32 v19, v18, v36
	v_add_f32_e32 v36, v10, v19
	v_fmamk_f32 v37, v36, 0x3e76c4e1, v30
	v_fmaak_f32 v37, v36, v37, 0x3ecccdef
	v_sub_f32_e32 v10, v36, v10
	v_sub_f32_e32 v10, v19, v10
	v_mul_f32_e32 v19, v36, v37
	v_fma_f32 v38, v36, v37, -v19
	v_fmac_f32_e32 v38, v10, v37
	v_add_f32_e32 v37, v19, v38
	v_add_f32_e32 v39, 0x3f2aaaaa, v37
	v_sub_f32_e32 v19, v37, v19
	v_sub_f32_e32 v19, v38, v19
	v_add_f32_e32 v38, 0xbf2aaaaa, v39
	v_add_f32_e32 v19, 0x31739010, v19
	v_sub_f32_e32 v37, v37, v38
	v_pk_mul_f32 v[40:41], v[18:19], v[36:37]
	v_pk_add_f32 v[42:43], v[18:19], v[36:37]
	v_fma_f32 v38, v36, v18, -v40
	v_fmac_f32_e32 v38, v36, v9
	v_mov_b32_e32 v41, v43
	v_fmac_f32_e32 v38, v10, v18
	v_pk_add_f32 v[36:37], v[40:41], v[38:39]
	v_ldexp_f32 v9, v9, 1
	v_sub_f32_e32 v10, v36, v40
	v_sub_f32_e32 v19, v38, v10
	;; [unrolled: 1-line block ×3, first 2 shown]
	v_add_f32_e32 v42, v43, v10
	v_mov_b32_e32 v10, v37
	v_cvt_f64_f32_e32 v[40:41], v51
	v_pk_mul_f32 v[38:39], v[36:37], v[10:11]
	v_frexp_exp_i32_f64_e32 v10, v[40:41]
	v_subbrev_co_u32_e64 v10, s[4:5], 0, v10, s[4:5]
	v_cvt_f32_i32_e32 v10, v10
	v_fma_f32 v40, v36, v37, -v38
	v_fmac_f32_e32 v40, v36, v42
	v_fmac_f32_e32 v40, v19, v37
	v_mul_f32_e32 v36, 0x3f317218, v10
	v_fma_f32 v42, v10, s40, -v36
	v_fmac_f32_e32 v42, 0xb102e308, v10
	v_ldexp_f32 v43, v18, 1
	v_add_f32_e32 v37, v38, v40
	v_pk_add_f32 v[18:19], v[36:37], v[42:43]
	v_mov_b32_e32 v44, v37
	v_mov_b32_e32 v45, v19
	;; [unrolled: 1-line block ×3, first 2 shown]
	v_pk_add_f32 v[38:39], v[44:45], v[38:39] neg_lo:[0,1] neg_hi:[0,1]
	v_mov_b32_e32 v41, v37
	v_pk_add_f32 v[38:39], v[40:41], v[38:39] neg_lo:[0,1] neg_hi:[0,1]
	v_mov_b32_e32 v43, v18
	v_add_f32_e32 v9, v9, v38
	v_add_f32_e32 v37, v9, v39
	v_pk_add_f32 v[38:39], v[18:19], v[36:37] neg_lo:[0,1] neg_hi:[0,1]
	v_pk_add_f32 v[40:41], v[18:19], v[36:37]
	v_mov_b32_e32 v44, v38
	v_mov_b32_e32 v45, v41
	v_pk_add_f32 v[44:45], v[42:43], v[44:45]
	v_pk_add_f32 v[38:39], v[42:43], v[38:39] neg_lo:[0,1] neg_hi:[0,1]
	v_mov_b32_e32 v10, v45
	v_pk_add_f32 v[46:47], v[10:11], v[18:19] neg_lo:[0,1] neg_hi:[0,1]
	v_mov_b32_e32 v44, v41
	v_mov_b32_e32 v9, v46
	;; [unrolled: 1-line block ×4, first 2 shown]
	v_pk_add_f32 v[48:49], v[40:41], v[8:9] neg_lo:[0,1] neg_hi:[0,1]
	v_pk_add_f32 v[18:19], v[44:45], v[18:19] neg_lo:[0,1] neg_hi:[0,1]
	v_mov_b32_e32 v42, v37
	v_pk_add_f32 v[18:19], v[42:43], v[18:19] neg_lo:[0,1] neg_hi:[0,1]
	v_mov_b32_e32 v48, v38
	v_pk_add_f32 v[36:37], v[48:49], v[18:19]
	v_mov_b32_e32 v39, v45
	v_mov_b32_e32 v40, v37
	v_pk_add_f32 v[40:41], v[36:37], v[40:41]
	s_nop 0
	v_pk_add_f32 v[42:43], v[10:11], v[40:41]
	v_mov_b32_e32 v19, v40
	v_mov_b32_e32 v37, v42
	v_pk_add_f32 v[44:45], v[36:37], v[38:39] neg_lo:[0,1] neg_hi:[0,1]
	s_nop 0
	v_sub_f32_e32 v9, v36, v44
	v_pk_add_f32 v[18:19], v[18:19], v[44:45] neg_lo:[0,1] neg_hi:[0,1]
	v_sub_f32_e32 v9, v38, v9
	v_add_f32_e32 v9, v18, v9
	v_add_f32_e32 v9, v9, v19
	v_add_f32_e32 v10, v42, v9
	v_sub_f32_e32 v18, v10, v42
	v_sub_f32_e32 v9, v9, v18
	v_mul_f32_e32 v18, v50, v10
	v_fma_f32 v10, v50, v10, -v18
	v_fmac_f32_e32 v10, v50, v9
	v_add_f32_e32 v9, v18, v10
	v_cmp_class_f32_e64 s[4:5], v18, s41
	v_sub_f32_e32 v19, v9, v18
	v_sub_f32_e32 v10, v10, v19
	v_cndmask_b32_e64 v9, v9, v18, s[4:5]
	v_cmp_eq_f32_e64 s[4:5], s43, v9
	s_nop 1
	v_cndmask_b32_e64 v18, 0, v31, s[4:5]
	v_sub_f32_e32 v19, v9, v18
	v_mul_f32_e32 v36, 0x3fb8aa3b, v19
	v_fma_f32 v37, v19, s44, -v36
	v_rndne_f32_e32 v38, v36
	v_fmac_f32_e32 v37, 0x32a5705f, v19
	v_sub_f32_e32 v36, v36, v38
	v_add_f32_e32 v36, v36, v37
	v_exp_f32_e32 v36, v36
	v_cvt_i32_f32_e32 v37, v38
	v_cmp_neq_f32_e64 s[4:5], |v9|, s42
	s_nop 1
	v_cndmask_b32_e64 v9, 0, v10, s[4:5]
	v_ldexp_f32 v10, v36, v37
	v_cmp_ngt_f32_e64 s[4:5], s45, v19
	v_add_f32_e32 v9, v18, v9
	v_trunc_f32_e32 v18, v50
	v_cndmask_b32_e64 v10, 0, v10, s[4:5]
	v_cmp_nlt_f32_e64 s[4:5], s43, v19
	s_nop 1
	v_cndmask_b32_e64 v10, v32, v10, s[4:5]
	v_fma_f32 v9, v10, v9, v10
	v_cmp_class_f32_e64 s[4:5], v10, s41
	s_nop 1
	v_cndmask_b32_e64 v9, v9, v10, s[4:5]
	v_cndmask_b32_e64 v10, v28, 1.0, vcc
	v_cmp_eq_f32_e32 vcc, v18, v50
	v_mul_f32_e32 v18, 0.5, v50
	v_trunc_f32_e32 v19, v18
	v_cmp_neq_f32_e64 s[4:5], v19, v18
	s_and_b64 s[4:5], vcc, s[4:5]
	s_nop 0
	v_cndmask_b32_e64 v18, 1.0, v10, s[4:5]
	v_bfi_b32 v9, s46, v9, v18
	v_cndmask_b32_e32 v18, v33, v9, vcc
	v_cmp_gt_f32_e32 vcc, 0, v10
	s_nop 1
	v_cndmask_b32_e32 v9, v9, v18, vcc
	v_cndmask_b32_e64 v18, |v35|, 1.0, s[2:3]
	v_cmp_neq_f32_e32 vcc, v50, v18
	s_xor_b64 s[6:7], vcc, s[6:7]
	v_cndmask_b32_e64 v19, v18, 0, s[6:7]
	v_cmp_eq_f32_e32 vcc, 1.0, v51
	v_cmp_eq_f32_e64 s[6:7], 0, v10
	s_xor_b64 s[8:9], s[8:9], s[6:7]
	v_cndmask_b32_e32 v19, v19, v51, vcc
	v_cmp_eq_f32_e32 vcc, s42, v18
	v_cndmask_b32_e64 v18, v32, 0, s[8:9]
	s_nop 0
	v_cndmask_b32_e32 v9, v9, v19, vcc
	v_cmp_eq_f32_e32 vcc, s42, v51
	v_cndmask_b32_e64 v19, 0, v10, s[4:5]
	v_bfi_b32 v18, s46, v18, v19
	s_or_b64 vcc, vcc, s[6:7]
	v_cndmask_b32_e32 v9, v9, v18, vcc
	v_div_scale_f32 v18, s[4:5], v9, v9, 1.0
	v_rcp_f32_e32 v19, v18
	s_nop 0
	v_fma_f32 v35, -v18, v19, 1.0
	v_fmac_f32_e32 v19, v35, v19
	v_div_scale_f32 v35, vcc, 1.0, v9, 1.0
	v_mul_f32_e32 v36, v35, v19
	v_fma_f32 v37, -v18, v36, v35
	v_fmac_f32_e32 v36, v37, v19
	v_fma_f32 v18, -v18, v36, v35
	v_div_fmas_f32 v18, v18, v19, v36
	v_div_fixup_f32 v9, v18, v9, 1.0
	v_cmp_o_f32_e32 vcc, v10, v10
	v_mov_b64_e32 v[18:19], v[16:17]
	v_mov_b32_e32 v35, v8
	v_cndmask_b32_e32 v9, v33, v9, vcc
	v_mul_f32_e32 v29, v29, v9
	v_fmac_f32_e32 v27, v34, v29
.LBB0_126:                              ;   in Loop: Header=BB0_127 Depth=1
	s_or_b64 exec, exec, s[34:35]
	s_add_i32 s36, s36, 1
	s_add_i32 s33, s33, 52
	v_cmp_eq_u32_e32 vcc, s36, v56
	s_or_b64 s[30:31], vcc, s[30:31]
	s_andn2_b64 exec, exec, s[30:31]
	s_cbranch_execz .LBB0_134
.LBB0_127:                              ; =>This Inner Loop Header: Depth=1
	s_add_i32 s4, s33, 12
	scratch_load_dword v8, off, s4
	s_waitcnt vmcnt(0)
	v_cmp_ge_i32_e32 vcc, v8, v7
	s_and_saveexec_b64 s[34:35], vcc
	s_cbranch_execz .LBB0_126
; %bb.128:                              ;   in Loop: Header=BB0_127 Depth=1
	s_add_i32 s4, s33, 48
	scratch_load_dword v34, off, s4
	scratch_load_dwordx3 v[8:10], off, s33
	s_waitcnt vmcnt(1)
	v_cmp_eq_f32_e32 vcc, -1.0, v34
	s_and_saveexec_b64 s[6:7], vcc
	s_cbranch_execz .LBB0_130
; %bb.129:                              ;   in Loop: Header=BB0_127 Depth=1
	s_add_i32 s4, s33, 32
	s_add_i32 s5, s33, 16
	scratch_load_dwordx3 v[36:38], off, s4
	scratch_load_dwordx3 v[40:42], off, s5
	s_waitcnt vmcnt(1)
	v_cmp_eq_u32_e32 vcc, 31, v37
	s_waitcnt vmcnt(0)
	v_cmp_gt_i32_e64 s[4:5], 30, v41
	v_min_i32_e32 v17, 30, v37
	v_not_b32_e32 v16, v40
	v_sub_u32_e32 v37, 30, v41
	s_and_b64 vcc, vcc, s[4:5]
	v_sub_u32_e32 v34, v38, v42
	v_addc_co_u32_e64 v36, s[4:5], v36, v16, vcc
	v_max_i32_e32 v16, 0, v37
	v_mul_lo_u32 v36, v36, 30
	v_cndmask_b32_e64 v37, v17, 1, vcc
	v_mad_u64_u32 v[16:17], s[4:5], v34, s37, v[16:17]
	v_add3_u32 v16, v16, v37, v36
	v_cvt_f32_i32_e32 v16, v16
	v_div_scale_f32 v17, s[4:5], s38, s38, v16
	v_rcp_f32_e32 v34, v17
	v_div_scale_f32 v36, vcc, v16, s38, v16
	v_fma_f32 v37, -v17, v34, 1.0
	v_fmac_f32_e32 v34, v37, v34
	v_mul_f32_e32 v37, v36, v34
	v_fma_f32 v38, -v17, v37, v36
	v_fmac_f32_e32 v37, v38, v34
	v_fma_f32 v17, -v17, v37, v36
	v_div_fmas_f32 v17, v17, v34, v37
	v_div_fixup_f32 v16, v17, s38, v16
	scratch_load_dword v17, off, off offset:1028 ; 4-byte Folded Reload
	s_waitcnt vmcnt(0)
	v_fma_f32 v16, v17, v16, 1.0
	v_add_f32_e32 v16, -1.0, v16
	v_mul_f32_e32 v34, 0x42c80000, v16
.LBB0_130:                              ;   in Loop: Header=BB0_127 Depth=1
	s_or_b64 exec, exec, s[6:7]
	s_xor_b64 s[4:5], s[28:29], -1
	s_waitcnt vmcnt(0)
	v_mov_b32_e32 v16, v9
	v_mov_b32_e32 v17, v10
	v_cmp_eq_u32_e32 vcc, 31, v9
	v_min_i32_e32 v9, 30, v9
                                        ; implicit-def: $vgpr36
	s_and_saveexec_b64 s[6:7], s[4:5]
	s_xor_b64 s[6:7], exec, s[6:7]
	s_cbranch_execz .LBB0_132
; %bb.131:                              ;   in Loop: Header=BB0_127 Depth=1
	v_cmp_gt_i32_e64 s[4:5], 30, v18
	s_and_b64 s[4:5], vcc, s[4:5]
	v_not_b32_e32 v35, v35
	v_cndmask_b32_e64 v36, 0, 1, s[4:5]
	v_sub_u32_e32 v18, 30, v18
	v_sub_u32_e32 v19, v10, v19
	v_add3_u32 v35, v8, v35, v36
	v_max_i32_e32 v18, 0, v18
	v_mul_lo_u32 v35, v35, 30
	v_cndmask_b32_e64 v9, v9, 1, s[4:5]
	v_mad_u64_u32 v[18:19], s[4:5], v19, s37, v[18:19]
	v_add3_u32 v36, v18, v9, v35
                                        ; implicit-def: $vgpr9
.LBB0_132:                              ;   in Loop: Header=BB0_127 Depth=1
	s_andn2_saveexec_b64 s[4:5], s[6:7]
	s_cbranch_execz .LBB0_125
; %bb.133:                              ;   in Loop: Header=BB0_127 Depth=1
	s_and_b64 s[6:7], vcc, s[0:1]
	v_cndmask_b32_e64 v18, 0, 1, s[6:7]
	v_sub_u32_e32 v10, v10, v6
	v_add3_u32 v18, v8, v22, v18
	v_mul_lo_u32 v35, v18, 30
	v_cndmask_b32_e64 v9, v9, 1, s[6:7]
	v_mad_u64_u32 v[18:19], s[6:7], v10, s37, v[4:5]
	v_add3_u32 v36, v18, v9, v35
	s_branch .LBB0_125
.LBB0_134:
	s_or_b64 exec, exec, s[30:31]
	s_movk_i32 s33, 0x230
	s_mov_b32 s34, -1
	s_mov_b64 s[28:29], 0
	v_mov_b32_e32 v16, 0
	s_movk_i32 s35, 0x168
	s_mov_b32 s36, 0x43b40000
	s_mov_b32 s37, 0x3f2aaaab
	v_mov_b32_e32 v18, 0x3e91f4c4
	s_mov_b32 s38, 0x3f317218
	s_movk_i32 s39, 0x204
	s_mov_b32 s40, 0x7f800000
	s_mov_b32 s41, 0x42b17218
	;; [unrolled: 1-line block ×4, first 2 shown]
	s_brev_b32 s44, -2
	v_mov_b32_e32 v19, 0x37000000
	v_mov_b32_e32 v29, 0x7f800000
	;; [unrolled: 1-line block ×4, first 2 shown]
                                        ; implicit-def: $vgpr8
	s_branch .LBB0_137
.LBB0_135:                              ;   in Loop: Header=BB0_137 Depth=1
	s_or_b64 exec, exec, s[6:7]
	s_waitcnt vmcnt(0)
	v_cmp_eq_u32_e32 vcc, 31, v9
	s_and_b64 s[4:5], vcc, s[0:1]
	v_cndmask_b32_e64 v32, 0, 1, s[4:5]
	v_min_i32_e32 v9, 30, v9
	v_sub_u32_e32 v10, v10, v6
	v_add3_u32 v8, v8, v22, v32
	v_mul_lo_u32 v32, v8, 30
	v_cndmask_b32_e64 v33, v9, 1, s[4:5]
	v_mad_u64_u32 v[8:9], s[4:5], v10, s35, v[4:5]
	v_add3_u32 v8, v8, v33, v32
	v_cvt_f32_i32_e32 v8, v8
	v_div_scale_f32 v9, s[4:5], s36, s36, v8
	v_rcp_f32_e32 v10, v9
	s_nop 0
	v_fma_f32 v32, -v9, v10, 1.0
	v_fmac_f32_e32 v10, v32, v10
	v_div_scale_f32 v32, vcc, v8, s36, v8
	v_mul_f32_e32 v33, v32, v10
	v_fma_f32 v34, -v9, v33, v32
	v_fmac_f32_e32 v33, v34, v10
	v_fma_f32 v9, -v9, v33, v32
	v_div_fmas_f32 v9, v9, v10, v33
	v_div_fixup_f32 v46, v9, s36, v8
	v_add_f32_e32 v47, v46, v46
	v_cndmask_b32_e64 v48, v47, 1.0, s[2:3]
	v_cmp_eq_f32_e32 vcc, 0, v48
	v_cmp_gt_f32_e64 s[8:9], 0, v48
	s_nop 0
	v_cndmask_b32_e64 v49, |v28|, 1.0, vcc
	v_frexp_mant_f32_e32 v8, v49
	v_cmp_gt_f32_e64 s[4:5], s37, v8
	v_cmp_gt_f32_e64 s[6:7], 1.0, v49
	s_nop 0
	v_cndmask_b32_e64 v9, 1.0, 2.0, s[4:5]
	v_mul_f32_e32 v8, v8, v9
	v_add_f32_e32 v10, 1.0, v8
	v_rcp_f32_e32 v38, v10
	v_add_f32_e32 v9, -1.0, v10
	v_sub_f32_e32 v33, v8, v9
	v_add_f32_e32 v9, -1.0, v8
	v_mul_f32_e32 v39, v9, v38
	v_mul_f32_e32 v32, v10, v39
	v_fma_f32 v34, v39, v10, -v32
	v_fmac_f32_e32 v34, v39, v33
	v_add_f32_e32 v8, v32, v34
	v_sub_f32_e32 v33, v9, v8
	v_pk_add_f32 v[36:37], v[8:9], v[32:33] neg_lo:[0,1] neg_hi:[0,1]
	v_mov_b32_e32 v35, v8
	v_pk_add_f32 v[8:9], v[36:37], v[34:35] neg_lo:[0,1] neg_hi:[0,1]
	s_nop 0
	v_add_f32_e32 v8, v8, v9
	v_add_f32_e32 v8, v33, v8
	v_mul_f32_e32 v9, v38, v8
	v_add_f32_e32 v8, v39, v9
	v_sub_f32_e32 v10, v8, v39
	v_sub_f32_e32 v40, v9, v10
	v_mul_f32_e32 v9, v8, v8
	v_fma_f32 v10, v8, v8, -v9
	v_add_f32_e32 v32, v40, v40
	v_fmac_f32_e32 v10, v8, v32
	v_add_f32_e32 v32, v9, v10
	v_fmamk_f32 v33, v32, 0x3e76c4e1, v18
	v_fmaak_f32 v33, v32, v33, 0x3ecccdef
	v_sub_f32_e32 v9, v32, v9
	v_sub_f32_e32 v10, v10, v9
	v_mul_f32_e32 v9, v32, v33
	v_fma_f32 v34, v32, v33, -v9
	v_fmac_f32_e32 v34, v10, v33
	v_add_f32_e32 v33, v9, v34
	v_add_f32_e32 v35, 0x3f2aaaaa, v33
	v_sub_f32_e32 v9, v33, v9
	v_sub_f32_e32 v9, v34, v9
	v_add_f32_e32 v34, 0xbf2aaaaa, v35
	v_add_f32_e32 v9, 0x31739010, v9
	v_sub_f32_e32 v33, v33, v34
	v_pk_mul_f32 v[36:37], v[8:9], v[32:33]
	v_pk_add_f32 v[38:39], v[8:9], v[32:33]
	v_fma_f32 v34, v32, v8, -v36
	v_fmac_f32_e32 v34, v32, v40
	v_mov_b32_e32 v37, v39
	v_fmac_f32_e32 v34, v10, v8
	v_pk_add_f32 v[32:33], v[36:37], v[34:35]
	s_nop 0
	v_sub_f32_e32 v10, v35, v33
	v_sub_f32_e32 v9, v32, v36
	v_add_f32_e32 v38, v39, v10
	v_mov_b32_e32 v10, v33
	v_cvt_f64_f32_e32 v[36:37], v49
	v_sub_f32_e32 v9, v34, v9
	v_pk_mul_f32 v[34:35], v[32:33], v[10:11]
	v_frexp_exp_i32_f64_e32 v10, v[36:37]
	v_subbrev_co_u32_e64 v10, s[4:5], 0, v10, s[4:5]
	v_cvt_f32_i32_e32 v10, v10
	v_fma_f32 v36, v32, v33, -v34
	v_fmac_f32_e32 v36, v32, v38
	v_fmac_f32_e32 v36, v9, v33
	v_mul_f32_e32 v32, 0x3f317218, v10
	v_fma_f32 v38, v10, s38, -v32
	v_fmac_f32_e32 v38, 0xb102e308, v10
	v_ldexp_f32 v39, v8, 1
	v_add_f32_e32 v33, v34, v36
	v_pk_add_f32 v[8:9], v[32:33], v[38:39]
	v_ldexp_f32 v10, v40, 1
	v_mov_b32_e32 v40, v33
	v_mov_b32_e32 v41, v9
	;; [unrolled: 1-line block ×3, first 2 shown]
	v_pk_add_f32 v[34:35], v[40:41], v[34:35] neg_lo:[0,1] neg_hi:[0,1]
	v_mov_b32_e32 v37, v33
	v_pk_add_f32 v[34:35], v[36:37], v[34:35] neg_lo:[0,1] neg_hi:[0,1]
	v_mov_b32_e32 v39, v8
	v_add_f32_e32 v10, v10, v34
	v_add_f32_e32 v33, v10, v35
	v_pk_add_f32 v[34:35], v[8:9], v[32:33] neg_lo:[0,1] neg_hi:[0,1]
	v_pk_add_f32 v[36:37], v[8:9], v[32:33]
	v_mov_b32_e32 v40, v34
	v_mov_b32_e32 v41, v37
	v_pk_add_f32 v[40:41], v[38:39], v[40:41]
	v_pk_add_f32 v[34:35], v[38:39], v[34:35] neg_lo:[0,1] neg_hi:[0,1]
	v_mov_b32_e32 v10, v41
	v_pk_add_f32 v[42:43], v[10:11], v[8:9] neg_lo:[0,1] neg_hi:[0,1]
	v_mov_b32_e32 v40, v37
	v_mov_b32_e32 v43, v42
	;; [unrolled: 1-line block ×4, first 2 shown]
	v_pk_add_f32 v[44:45], v[36:37], v[42:43] neg_lo:[0,1] neg_hi:[0,1]
	v_pk_add_f32 v[8:9], v[40:41], v[8:9] neg_lo:[0,1] neg_hi:[0,1]
	v_mov_b32_e32 v38, v33
	v_pk_add_f32 v[8:9], v[38:39], v[8:9] neg_lo:[0,1] neg_hi:[0,1]
	v_mov_b32_e32 v44, v34
	v_pk_add_f32 v[32:33], v[44:45], v[8:9]
	v_mov_b32_e32 v35, v41
	v_mov_b32_e32 v36, v33
	v_pk_add_f32 v[36:37], v[32:33], v[36:37]
	s_nop 0
	v_pk_add_f32 v[38:39], v[10:11], v[36:37]
	v_mov_b32_e32 v9, v36
	v_mov_b32_e32 v33, v38
	v_pk_add_f32 v[40:41], v[32:33], v[34:35] neg_lo:[0,1] neg_hi:[0,1]
	s_nop 0
	v_sub_f32_e32 v10, v32, v40
	v_pk_add_f32 v[8:9], v[8:9], v[40:41] neg_lo:[0,1] neg_hi:[0,1]
	v_sub_f32_e32 v10, v34, v10
	v_add_f32_e32 v8, v8, v10
	v_add_f32_e32 v8, v8, v9
	;; [unrolled: 1-line block ×3, first 2 shown]
	v_sub_f32_e32 v10, v9, v38
	v_sub_f32_e32 v8, v8, v10
	v_mul_f32_e32 v10, v48, v9
	v_fma_f32 v9, v48, v9, -v10
	v_fmac_f32_e32 v9, v48, v8
	v_add_f32_e32 v8, v10, v9
	v_cmp_class_f32_e64 s[4:5], v10, s39
	v_sub_f32_e32 v32, v8, v10
	v_sub_f32_e32 v9, v9, v32
	v_cndmask_b32_e64 v8, v8, v10, s[4:5]
	v_cmp_eq_f32_e64 s[4:5], s41, v8
	s_nop 1
	v_cndmask_b32_e64 v10, 0, v19, s[4:5]
	v_sub_f32_e32 v32, v8, v10
	v_mul_f32_e32 v33, 0x3fb8aa3b, v32
	v_fma_f32 v34, v32, s42, -v33
	v_rndne_f32_e32 v35, v33
	v_fmac_f32_e32 v34, 0x32a5705f, v32
	v_sub_f32_e32 v33, v33, v35
	v_add_f32_e32 v33, v33, v34
	v_exp_f32_e32 v33, v33
	v_cvt_i32_f32_e32 v34, v35
	v_cmp_neq_f32_e64 s[4:5], |v8|, s40
	s_nop 1
	v_cndmask_b32_e64 v8, 0, v9, s[4:5]
	v_ldexp_f32 v9, v33, v34
	v_cmp_ngt_f32_e64 s[4:5], s43, v32
	v_add_f32_e32 v8, v10, v8
	v_trunc_f32_e32 v10, v48
	v_cndmask_b32_e64 v9, 0, v9, s[4:5]
	v_cmp_nlt_f32_e64 s[4:5], s41, v32
	s_nop 1
	v_cndmask_b32_e64 v9, v29, v9, s[4:5]
	v_fma_f32 v8, v9, v8, v9
	v_cmp_class_f32_e64 s[4:5], v9, s39
	s_nop 1
	v_cndmask_b32_e64 v8, v8, v9, s[4:5]
	v_cndmask_b32_e64 v9, v28, 1.0, vcc
	v_cmp_eq_f32_e32 vcc, v10, v48
	v_mul_f32_e32 v10, 0.5, v48
	v_trunc_f32_e32 v32, v10
	v_cmp_neq_f32_e64 s[4:5], v32, v10
	s_and_b64 s[4:5], vcc, s[4:5]
	s_nop 0
	v_cndmask_b32_e64 v10, 1.0, v9, s[4:5]
	v_bfi_b32 v8, s44, v8, v10
	v_cndmask_b32_e32 v10, v30, v8, vcc
	v_cmp_gt_f32_e32 vcc, 0, v9
	s_nop 1
	v_cndmask_b32_e32 v8, v8, v10, vcc
	v_cndmask_b32_e64 v10, |v47|, 1.0, s[2:3]
	v_cmp_neq_f32_e32 vcc, v48, v10
	s_xor_b64 s[6:7], vcc, s[6:7]
	v_cndmask_b32_e64 v32, v10, 0, s[6:7]
	v_cmp_eq_f32_e32 vcc, 1.0, v49
	v_cmp_eq_f32_e64 s[6:7], 0, v9
	s_xor_b64 s[8:9], s[8:9], s[6:7]
	v_cndmask_b32_e32 v32, v32, v49, vcc
	v_cmp_eq_f32_e32 vcc, s40, v10
	v_cndmask_b32_e64 v10, v29, 0, s[8:9]
	s_nop 0
	v_cndmask_b32_e32 v8, v8, v32, vcc
	v_cmp_eq_f32_e32 vcc, s40, v49
	v_cndmask_b32_e64 v32, 0, v9, s[4:5]
	v_bfi_b32 v10, s44, v10, v32
	s_or_b64 vcc, vcc, s[6:7]
	v_cndmask_b32_e32 v8, v8, v10, vcc
	v_div_scale_f32 v10, s[4:5], v8, v8, 1.0
	v_rcp_f32_e32 v32, v10
	s_nop 0
	v_fma_f32 v33, -v10, v32, 1.0
	v_fmac_f32_e32 v32, v33, v32
	v_div_scale_f32 v33, vcc, 1.0, v8, 1.0
	v_mul_f32_e32 v34, v33, v32
	v_fma_f32 v35, -v10, v34, v33
	v_fmac_f32_e32 v34, v35, v32
	v_fma_f32 v10, -v10, v34, v33
	v_div_fmas_f32 v10, v10, v32, v34
	v_div_fixup_f32 v8, v10, v8, 1.0
	v_cmp_o_f32_e32 vcc, v9, v9
	v_mul_f32_e32 v9, v46, v31
	s_nop 0
	v_cndmask_b32_e32 v8, v30, v8, vcc
	v_mul_f32_e32 v9, v8, v9
	v_div_scale_f32 v10, s[4:5], v28, v28, v9
	v_rcp_f32_e32 v32, v10
	v_fmac_f32_e32 v16, v8, v31
	v_fma_f32 v8, -v10, v32, 1.0
	v_fmac_f32_e32 v32, v8, v32
	v_div_scale_f32 v8, vcc, v9, v28, v9
	v_mul_f32_e32 v31, v8, v32
	v_fma_f32 v33, -v10, v31, v8
	v_fmac_f32_e32 v31, v33, v32
	v_fma_f32 v8, -v10, v31, v8
	v_div_fmas_f32 v8, v8, v32, v31
	v_div_fixup_f32 v8, v8, v28, v9
	v_sub_f32_e32 v17, v17, v8
.LBB0_136:                              ;   in Loop: Header=BB0_137 Depth=1
	s_or_b64 exec, exec, s[30:31]
	s_add_i32 s34, s34, 1
	s_add_i32 s33, s33, 52
	v_cmp_eq_u32_e32 vcc, s34, v56
	s_or_b64 s[28:29], vcc, s[28:29]
	s_andn2_b64 exec, exec, s[28:29]
	s_cbranch_execz .LBB0_140
.LBB0_137:                              ; =>This Inner Loop Header: Depth=1
	s_add_i32 s4, s33, 12
	scratch_load_dword v8, off, s4
	s_waitcnt vmcnt(0)
	v_cmp_ge_i32_e32 vcc, v8, v7
	s_and_saveexec_b64 s[30:31], vcc
	s_cbranch_execz .LBB0_136
; %bb.138:                              ;   in Loop: Header=BB0_137 Depth=1
	s_add_i32 s4, s33, 48
	scratch_load_dword v31, off, s4
	scratch_load_dwordx3 v[8:10], off, s33
	s_waitcnt vmcnt(1)
	v_cmp_eq_f32_e32 vcc, -1.0, v31
	s_and_saveexec_b64 s[6:7], vcc
	s_cbranch_execz .LBB0_135
; %bb.139:                              ;   in Loop: Header=BB0_137 Depth=1
	s_add_i32 s4, s33, 32
	s_add_i32 s5, s33, 16
	scratch_load_dwordx3 v[32:34], off, s4
	scratch_load_dwordx3 v[36:38], off, s5
	s_waitcnt vmcnt(1)
	v_cmp_eq_u32_e32 vcc, 31, v33
	s_waitcnt vmcnt(0)
	v_cmp_gt_i32_e64 s[4:5], 30, v37
	v_min_i32_e32 v31, 30, v33
	v_sub_u32_e32 v33, v34, v38
	v_not_b32_e32 v34, v36
	v_sub_u32_e32 v35, 30, v37
	s_and_b64 vcc, vcc, s[4:5]
	v_addc_co_u32_e64 v34, s[4:5], v32, v34, vcc
	v_max_i32_e32 v32, 0, v35
	v_mul_lo_u32 v34, v34, 30
	v_cndmask_b32_e64 v31, v31, 1, vcc
	v_mad_u64_u32 v[32:33], s[4:5], v33, s35, v[32:33]
	v_add3_u32 v31, v32, v31, v34
	v_cvt_f32_i32_e32 v31, v31
	v_div_scale_f32 v32, s[4:5], s36, s36, v31
	v_rcp_f32_e32 v33, v32
	v_div_scale_f32 v34, vcc, v31, s36, v31
	v_fma_f32 v35, -v32, v33, 1.0
	v_fmac_f32_e32 v33, v35, v33
	v_mul_f32_e32 v35, v34, v33
	v_fma_f32 v36, -v32, v35, v34
	v_fmac_f32_e32 v35, v36, v33
	v_fma_f32 v32, -v32, v35, v34
	v_div_fmas_f32 v32, v32, v33, v35
	v_div_fixup_f32 v31, v32, s36, v31
	scratch_load_dword v32, off, off offset:1028 ; 4-byte Folded Reload
	s_waitcnt vmcnt(0)
	v_fma_f32 v31, v32, v31, 1.0
	v_add_f32_e32 v31, -1.0, v31
	v_mul_f32_e32 v31, 0x42c80000, v31
	s_branch .LBB0_135
.LBB0_140:
	s_or_b64 exec, exec, s[28:29]
	v_cmp_neq_f32_e32 vcc, 0, v16
	v_mov_b32_e32 v10, 0
	s_and_saveexec_b64 s[2:3], vcc
; %bb.141:
	v_div_scale_f32 v8, s[4:5], v16, v16, -v17
	v_rcp_f32_e32 v9, v8
	v_div_scale_f32 v10, vcc, -v17, v16, -v17
	v_fma_f32 v18, -v8, v9, 1.0
	v_fmac_f32_e32 v9, v18, v9
	v_mul_f32_e32 v18, v10, v9
	v_fma_f32 v19, -v8, v18, v10
	v_fmac_f32_e32 v18, v19, v9
	v_fma_f32 v8, -v8, v18, v10
	v_div_fmas_f32 v8, v8, v9, v18
	v_div_fixup_f32 v10, v8, v16, -v17
; %bb.142:
	s_or_b64 exec, exec, s[2:3]
	s_movk_i32 s2, 0x64
	v_cmp_ne_u32_e32 vcc, s2, v23
	s_and_saveexec_b64 s[28:29], vcc
	s_cbranch_execz .LBB0_170
; %bb.143:
	v_cmp_gt_f32_e32 vcc, 0, v25
	v_sub_f32_e32 v28, v24, v11
                                        ; implicit-def: $vgpr8
	v_sub_f32_e32 v9, v5, v27
	v_cndmask_b32_e32 v25, v24, v11, vcc
	v_cndmask_b32_e32 v24, v11, v24, vcc
	s_mov_b64 s[30:31], 0
	v_mov_b32_e32 v11, 2.0
	s_brev_b32 s33, -2
	s_mov_b32 s42, 0x322bcc77
	v_mov_b32_e32 v27, 0x230
	s_movk_i32 s43, 0x168
	s_mov_b32 s44, 0x43b40000
	s_mov_b32 s45, 0x3f2aaaab
	v_mov_b32_e32 v29, 0x3e91f4c4
	s_mov_b32 s46, 0x3f317218
	s_movk_i32 s47, 0x204
	s_mov_b32 s48, 0x7f800000
	s_mov_b32 s49, 0x42b17218
	;; [unrolled: 1-line block ×4, first 2 shown]
	s_movk_i32 s52, 0x62
	v_mov_b32_e32 v30, 0x37000000
	v_mov_b32_e32 v31, 0x7f800000
	v_mov_b32_e32 v32, 0x7fc00000
	v_mov_b32_e32 v8, v28
	s_branch .LBB0_146
.LBB0_144:                              ;   in Loop: Header=BB0_146 Depth=1
	s_or_b64 exec, exec, s[2:3]
	v_sub_f32_e32 v9, v5, v34
	v_cmp_gt_f32_e32 vcc, 0, v9
	v_add_u32_e32 v8, 1, v23
	s_nop 0
	v_cndmask_b32_e32 v25, v25, v26, vcc
	v_cndmask_b32_e32 v24, v26, v24, vcc
	v_cmp_lt_i32_e32 vcc, s52, v23
	s_orn2_b64 s[2:3], vcc, exec
	v_mov_b32_e32 v23, v8
.LBB0_145:                              ;   in Loop: Header=BB0_146 Depth=1
	s_or_b64 exec, exec, s[34:35]
	s_and_b64 s[2:3], exec, s[2:3]
	v_mov_b32_e32 v8, v28
	s_or_b64 s[30:31], s[2:3], s[30:31]
	v_mov_b32_e32 v28, v33
	s_andn2_b64 exec, exec, s[30:31]
	s_cbranch_execz .LBB0_169
.LBB0_146:                              ; =>This Loop Header: Depth=1
                                        ;     Child Loop BB0_154 Depth 2
                                        ;     Child Loop BB0_164 Depth 2
	v_sub_f32_e32 v16, v26, v24
	v_sub_f32_e32 v17, v26, v25
	v_fma_f32 v16, v10, v16, -v9
	v_fma_f32 v17, v10, v17, -v9
	v_mul_f32_e32 v16, v16, v17
	v_cmp_nlt_f32_e32 vcc, 0, v16
	v_pk_mul_f32 v[16:17], v[8:9], v[10:11]
                                        ; implicit-def: $vgpr33
	s_nop 0
	v_and_b32_e32 v8, 0x7fffffff, v16
	v_and_b32_e32 v16, 0x7fffffff, v17
	v_cmp_ngt_f32_e64 s[2:3], v16, v8
	s_and_b64 s[2:3], vcc, s[2:3]
	s_and_saveexec_b64 s[4:5], s[2:3]
	s_xor_b64 s[2:3], exec, s[4:5]
	s_cbranch_execz .LBB0_148
; %bb.147:                              ;   in Loop: Header=BB0_146 Depth=1
	v_div_scale_f32 v8, s[4:5], v10, v10, v9
	v_rcp_f32_e32 v16, v8
	v_div_scale_f32 v17, vcc, v9, v10, v9
	v_fma_f32 v18, -v8, v16, 1.0
	v_fmac_f32_e32 v16, v18, v16
	v_mul_f32_e32 v18, v17, v16
	v_fma_f32 v19, -v8, v18, v17
	v_fmac_f32_e32 v18, v19, v16
	v_fma_f32 v8, -v8, v18, v17
	v_div_fmas_f32 v8, v8, v16, v18
	v_div_fixup_f32 v33, v8, v10, v9
	v_sub_f32_e32 v26, v26, v33
.LBB0_148:                              ;   in Loop: Header=BB0_146 Depth=1
	s_andn2_saveexec_b64 s[2:3], s[2:3]
; %bb.149:                              ;   in Loop: Header=BB0_146 Depth=1
	v_sub_f32_e32 v8, v24, v25
	v_mul_f32_e32 v33, 0.5, v8
	v_fma_f32 v26, 0.5, v8, v25
; %bb.150:                              ;   in Loop: Header=BB0_146 Depth=1
	s_or_b64 exec, exec, s[2:3]
	v_cmp_nlt_f32_e64 s[4:5], |v33|, s42
	s_mov_b64 s[2:3], -1
                                        ; implicit-def: $vgpr9
	s_and_saveexec_b64 s[34:35], s[4:5]
	s_cbranch_execz .LBB0_145
; %bb.151:                              ;   in Loop: Header=BB0_146 Depth=1
	v_fma_f32 v35, v26, 0.5, 1.0
	v_readfirstlane_b32 s4, v27
	v_cmp_eq_f32_e64 s[2:3], 1.0, v35
	s_mov_b32 s53, s4
	s_mov_b64 s[36:37], -1
	s_mov_b32 s54, -1
	s_mov_b64 s[38:39], 0
	v_mov_b32_e32 v34, 0
	v_mov_b32_e32 v36, 1.0
                                        ; implicit-def: $vgpr38
                                        ; implicit-def: $vgpr18_vgpr19
	s_branch .LBB0_154
.LBB0_152:                              ;   in Loop: Header=BB0_154 Depth=2
	s_or_b64 exec, exec, s[4:5]
	v_cvt_f32_i32_e32 v9, v39
	s_andn2_b64 s[36:37], s[36:37], exec
	v_div_scale_f32 v10, s[4:5], s44, s44, v9
	v_rcp_f32_e32 v18, v10
	v_div_scale_f32 v19, vcc, v9, s44, v9
	v_fma_f32 v38, -v10, v18, 1.0
	v_fmac_f32_e32 v18, v38, v18
	v_mul_f32_e32 v38, v19, v18
	v_fma_f32 v39, -v10, v38, v19
	v_fmac_f32_e32 v38, v39, v18
	v_fma_f32 v10, -v10, v38, v19
	v_div_fmas_f32 v10, v10, v18, v38
	v_div_fixup_f32 v9, v10, s44, v9
	v_add_f32_e32 v52, v9, v9
	v_cndmask_b32_e64 v53, v52, 1.0, s[2:3]
	v_cmp_eq_f32_e32 vcc, 0, v53
	v_cmp_gt_f32_e64 s[8:9], 0, v53
	s_nop 0
	v_cndmask_b32_e64 v54, |v35|, 1.0, vcc
	v_frexp_mant_f32_e32 v9, v54
	v_cmp_gt_f32_e64 s[4:5], s45, v9
	v_cmp_gt_f32_e64 s[6:7], 1.0, v54
	s_nop 0
	v_cndmask_b32_e64 v10, 1.0, 2.0, s[4:5]
	v_mul_f32_e32 v9, v9, v10
	v_add_f32_e32 v10, 1.0, v9
	v_rcp_f32_e32 v44, v10
	v_add_f32_e32 v19, -1.0, v9
	v_add_f32_e32 v18, -1.0, v10
	v_sub_f32_e32 v9, v9, v18
	v_mul_f32_e32 v45, v19, v44
	v_mul_f32_e32 v38, v10, v45
	v_fma_f32 v40, v45, v10, -v38
	v_fmac_f32_e32 v40, v45, v9
	v_add_f32_e32 v18, v38, v40
	v_sub_f32_e32 v39, v19, v18
	v_pk_add_f32 v[42:43], v[18:19], v[38:39] neg_lo:[0,1] neg_hi:[0,1]
	v_mov_b32_e32 v41, v18
	v_pk_add_f32 v[18:19], v[42:43], v[40:41] neg_lo:[0,1] neg_hi:[0,1]
	s_nop 0
	v_add_f32_e32 v9, v18, v19
	v_add_f32_e32 v9, v39, v9
	v_mul_f32_e32 v9, v44, v9
	v_add_f32_e32 v18, v45, v9
	v_sub_f32_e32 v10, v18, v45
	v_sub_f32_e32 v9, v9, v10
	v_mul_f32_e32 v10, v18, v18
	v_fma_f32 v19, v18, v18, -v10
	v_add_f32_e32 v38, v9, v9
	v_fmac_f32_e32 v19, v18, v38
	v_add_f32_e32 v38, v10, v19
	v_fmamk_f32 v39, v38, 0x3e76c4e1, v29
	v_fmaak_f32 v39, v38, v39, 0x3ecccdef
	v_sub_f32_e32 v10, v38, v10
	v_sub_f32_e32 v10, v19, v10
	v_mul_f32_e32 v19, v38, v39
	v_fma_f32 v40, v38, v39, -v19
	v_fmac_f32_e32 v40, v10, v39
	v_add_f32_e32 v39, v19, v40
	v_add_f32_e32 v41, 0x3f2aaaaa, v39
	v_sub_f32_e32 v19, v39, v19
	v_sub_f32_e32 v19, v40, v19
	v_add_f32_e32 v40, 0xbf2aaaaa, v41
	v_add_f32_e32 v19, 0x31739010, v19
	v_sub_f32_e32 v39, v39, v40
	v_pk_mul_f32 v[42:43], v[18:19], v[38:39]
	v_pk_add_f32 v[44:45], v[18:19], v[38:39]
	v_fma_f32 v40, v38, v18, -v42
	v_fmac_f32_e32 v40, v38, v9
	v_mov_b32_e32 v43, v45
	v_fmac_f32_e32 v40, v10, v18
	v_pk_add_f32 v[38:39], v[42:43], v[40:41]
	v_ldexp_f32 v9, v9, 1
	v_sub_f32_e32 v10, v38, v42
	v_sub_f32_e32 v19, v40, v10
	;; [unrolled: 1-line block ×3, first 2 shown]
	v_add_f32_e32 v44, v45, v10
	v_mov_b32_e32 v10, v39
	v_cvt_f64_f32_e32 v[42:43], v54
	v_pk_mul_f32 v[40:41], v[38:39], v[10:11]
	v_frexp_exp_i32_f64_e32 v10, v[42:43]
	v_subbrev_co_u32_e64 v10, s[4:5], 0, v10, s[4:5]
	v_cvt_f32_i32_e32 v10, v10
	v_fma_f32 v42, v38, v39, -v40
	v_fmac_f32_e32 v42, v38, v44
	v_fmac_f32_e32 v42, v19, v39
	v_mul_f32_e32 v38, 0x3f317218, v10
	v_fma_f32 v44, v10, s46, -v38
	v_fmac_f32_e32 v44, 0xb102e308, v10
	v_ldexp_f32 v45, v18, 1
	v_add_f32_e32 v39, v40, v42
	v_pk_add_f32 v[18:19], v[38:39], v[44:45]
	v_mov_b32_e32 v46, v39
	v_mov_b32_e32 v47, v19
	;; [unrolled: 1-line block ×3, first 2 shown]
	v_pk_add_f32 v[40:41], v[46:47], v[40:41] neg_lo:[0,1] neg_hi:[0,1]
	v_mov_b32_e32 v43, v39
	v_pk_add_f32 v[40:41], v[42:43], v[40:41] neg_lo:[0,1] neg_hi:[0,1]
	v_mov_b32_e32 v45, v18
	v_add_f32_e32 v9, v9, v40
	v_add_f32_e32 v39, v9, v41
	v_pk_add_f32 v[40:41], v[18:19], v[38:39] neg_lo:[0,1] neg_hi:[0,1]
	v_pk_add_f32 v[42:43], v[18:19], v[38:39]
	v_mov_b32_e32 v46, v40
	v_mov_b32_e32 v47, v43
	v_pk_add_f32 v[46:47], v[44:45], v[46:47]
	v_pk_add_f32 v[40:41], v[44:45], v[40:41] neg_lo:[0,1] neg_hi:[0,1]
	v_mov_b32_e32 v10, v47
	v_pk_add_f32 v[48:49], v[10:11], v[18:19] neg_lo:[0,1] neg_hi:[0,1]
	v_mov_b32_e32 v46, v43
	v_mov_b32_e32 v9, v48
	;; [unrolled: 1-line block ×4, first 2 shown]
	v_pk_add_f32 v[50:51], v[42:43], v[8:9] neg_lo:[0,1] neg_hi:[0,1]
	v_pk_add_f32 v[18:19], v[46:47], v[18:19] neg_lo:[0,1] neg_hi:[0,1]
	v_mov_b32_e32 v44, v39
	v_pk_add_f32 v[18:19], v[44:45], v[18:19] neg_lo:[0,1] neg_hi:[0,1]
	v_mov_b32_e32 v50, v40
	v_pk_add_f32 v[38:39], v[50:51], v[18:19]
	v_mov_b32_e32 v41, v47
	v_mov_b32_e32 v42, v39
	v_pk_add_f32 v[42:43], v[38:39], v[42:43]
	s_nop 0
	v_pk_add_f32 v[44:45], v[10:11], v[42:43]
	v_mov_b32_e32 v19, v42
	v_mov_b32_e32 v39, v44
	v_pk_add_f32 v[46:47], v[38:39], v[40:41] neg_lo:[0,1] neg_hi:[0,1]
	s_nop 0
	v_sub_f32_e32 v9, v38, v46
	v_pk_add_f32 v[18:19], v[18:19], v[46:47] neg_lo:[0,1] neg_hi:[0,1]
	v_sub_f32_e32 v9, v40, v9
	v_add_f32_e32 v9, v18, v9
	v_add_f32_e32 v9, v9, v19
	;; [unrolled: 1-line block ×3, first 2 shown]
	v_sub_f32_e32 v18, v10, v44
	v_sub_f32_e32 v9, v9, v18
	v_mul_f32_e32 v18, v53, v10
	v_fma_f32 v10, v53, v10, -v18
	v_fmac_f32_e32 v10, v53, v9
	v_add_f32_e32 v9, v18, v10
	v_cmp_class_f32_e64 s[4:5], v18, s47
	v_sub_f32_e32 v19, v9, v18
	v_sub_f32_e32 v10, v10, v19
	v_cndmask_b32_e64 v9, v9, v18, s[4:5]
	v_cmp_eq_f32_e64 s[4:5], s49, v9
	s_nop 1
	v_cndmask_b32_e64 v18, 0, v30, s[4:5]
	v_sub_f32_e32 v19, v9, v18
	v_mul_f32_e32 v38, 0x3fb8aa3b, v19
	v_fma_f32 v39, v19, s50, -v38
	v_rndne_f32_e32 v40, v38
	v_fmac_f32_e32 v39, 0x32a5705f, v19
	v_sub_f32_e32 v38, v38, v40
	v_add_f32_e32 v38, v38, v39
	v_exp_f32_e32 v38, v38
	v_cvt_i32_f32_e32 v39, v40
	v_cmp_neq_f32_e64 s[4:5], |v9|, s48
	s_nop 1
	v_cndmask_b32_e64 v9, 0, v10, s[4:5]
	v_ldexp_f32 v10, v38, v39
	v_cmp_ngt_f32_e64 s[4:5], s51, v19
	v_add_f32_e32 v9, v18, v9
	v_trunc_f32_e32 v18, v53
	v_cndmask_b32_e64 v10, 0, v10, s[4:5]
	v_cmp_nlt_f32_e64 s[4:5], s49, v19
	s_nop 1
	v_cndmask_b32_e64 v10, v31, v10, s[4:5]
	v_fma_f32 v9, v10, v9, v10
	v_cmp_class_f32_e64 s[4:5], v10, s47
	s_nop 1
	v_cndmask_b32_e64 v9, v9, v10, s[4:5]
	v_cndmask_b32_e64 v10, v35, 1.0, vcc
	v_cmp_eq_f32_e32 vcc, v18, v53
	v_mul_f32_e32 v18, 0.5, v53
	v_trunc_f32_e32 v19, v18
	v_cmp_neq_f32_e64 s[4:5], v19, v18
	s_and_b64 s[4:5], vcc, s[4:5]
	s_nop 0
	v_cndmask_b32_e64 v18, 1.0, v10, s[4:5]
	v_bfi_b32 v9, s33, v9, v18
	v_cndmask_b32_e32 v18, v32, v9, vcc
	v_cmp_gt_f32_e32 vcc, 0, v10
	s_nop 1
	v_cndmask_b32_e32 v9, v9, v18, vcc
	v_cndmask_b32_e64 v18, |v52|, 1.0, s[2:3]
	v_cmp_neq_f32_e32 vcc, v53, v18
	s_xor_b64 s[6:7], vcc, s[6:7]
	v_cndmask_b32_e64 v19, v18, 0, s[6:7]
	v_cmp_eq_f32_e32 vcc, 1.0, v54
	v_cmp_eq_f32_e64 s[6:7], 0, v10
	s_xor_b64 s[8:9], s[8:9], s[6:7]
	v_cndmask_b32_e32 v19, v19, v54, vcc
	v_cmp_eq_f32_e32 vcc, s48, v18
	v_cndmask_b32_e64 v18, v31, 0, s[8:9]
	s_nop 0
	v_cndmask_b32_e32 v9, v9, v19, vcc
	v_cmp_eq_f32_e32 vcc, s48, v54
	v_cndmask_b32_e64 v19, 0, v10, s[4:5]
	v_bfi_b32 v18, s33, v18, v19
	s_or_b64 vcc, vcc, s[6:7]
	v_cndmask_b32_e32 v9, v9, v18, vcc
	v_div_scale_f32 v18, s[4:5], v9, v9, 1.0
	v_rcp_f32_e32 v19, v18
	s_nop 0
	v_fma_f32 v38, -v18, v19, 1.0
	v_fmac_f32_e32 v19, v38, v19
	v_div_scale_f32 v38, vcc, 1.0, v9, 1.0
	v_mul_f32_e32 v39, v38, v19
	v_fma_f32 v40, -v18, v39, v38
	v_fmac_f32_e32 v39, v40, v19
	v_fma_f32 v18, -v18, v39, v38
	v_div_fmas_f32 v18, v18, v19, v39
	v_div_fixup_f32 v9, v18, v9, 1.0
	v_cmp_o_f32_e32 vcc, v10, v10
	v_mov_b64_e32 v[18:19], v[16:17]
	v_mov_b32_e32 v38, v8
	v_cndmask_b32_e32 v9, v32, v9, vcc
	v_mul_f32_e32 v36, v36, v9
	v_fmac_f32_e32 v34, v37, v36
.LBB0_153:                              ;   in Loop: Header=BB0_154 Depth=2
	s_or_b64 exec, exec, s[40:41]
	s_add_i32 s54, s54, 1
	s_add_i32 s53, s53, 52
	v_cmp_eq_u32_e32 vcc, s54, v56
	s_or_b64 s[38:39], vcc, s[38:39]
	s_andn2_b64 exec, exec, s[38:39]
	s_cbranch_execz .LBB0_161
.LBB0_154:                              ;   Parent Loop BB0_146 Depth=1
                                        ; =>  This Inner Loop Header: Depth=2
	s_add_i32 s4, s53, 12
	scratch_load_dword v8, off, s4
	s_waitcnt vmcnt(0)
	v_cmp_ge_i32_e32 vcc, v8, v7
	s_and_saveexec_b64 s[40:41], vcc
	s_cbranch_execz .LBB0_153
; %bb.155:                              ;   in Loop: Header=BB0_154 Depth=2
	s_add_i32 s4, s53, 48
	scratch_load_dword v37, off, s4
	scratch_load_dwordx3 v[8:10], off, s53
	s_waitcnt vmcnt(1)
	v_cmp_eq_f32_e32 vcc, -1.0, v37
	s_and_saveexec_b64 s[6:7], vcc
	s_cbranch_execz .LBB0_157
; %bb.156:                              ;   in Loop: Header=BB0_154 Depth=2
	s_add_i32 s4, s53, 32
	s_add_i32 s5, s53, 16
	scratch_load_dwordx3 v[40:42], off, s4
	scratch_load_dwordx3 v[44:46], off, s5
	s_waitcnt vmcnt(1)
	v_cmp_eq_u32_e32 vcc, 31, v41
	s_waitcnt vmcnt(0)
	v_cmp_gt_i32_e64 s[4:5], 30, v45
	v_not_b32_e32 v16, v44
	v_sub_u32_e32 v39, 30, v45
	s_and_b64 vcc, vcc, s[4:5]
	v_min_i32_e32 v17, 30, v41
	v_sub_u32_e32 v37, v42, v46
	v_addc_co_u32_e64 v40, s[4:5], v40, v16, vcc
	v_max_i32_e32 v16, 0, v39
	v_mul_lo_u32 v39, v40, 30
	v_cndmask_b32_e64 v40, v17, 1, vcc
	v_mad_u64_u32 v[16:17], s[4:5], v37, s43, v[16:17]
	v_add3_u32 v16, v16, v40, v39
	v_cvt_f32_i32_e32 v16, v16
	v_div_scale_f32 v17, s[4:5], s44, s44, v16
	v_rcp_f32_e32 v37, v17
	v_div_scale_f32 v39, vcc, v16, s44, v16
	v_fma_f32 v40, -v17, v37, 1.0
	v_fmac_f32_e32 v37, v40, v37
	v_mul_f32_e32 v40, v39, v37
	v_fma_f32 v41, -v17, v40, v39
	v_fmac_f32_e32 v40, v41, v37
	v_fma_f32 v17, -v17, v40, v39
	v_div_fmas_f32 v17, v17, v37, v40
	v_div_fixup_f32 v16, v17, s44, v16
	scratch_load_dword v17, off, off offset:1028 ; 4-byte Folded Reload
	s_waitcnt vmcnt(0)
	v_fma_f32 v16, v17, v16, 1.0
	v_add_f32_e32 v16, -1.0, v16
	v_mul_f32_e32 v37, 0x42c80000, v16
.LBB0_157:                              ;   in Loop: Header=BB0_154 Depth=2
	s_or_b64 exec, exec, s[6:7]
	s_xor_b64 s[4:5], s[36:37], -1
	s_waitcnt vmcnt(0)
	v_mov_b32_e32 v16, v9
	v_mov_b32_e32 v17, v10
	v_cmp_eq_u32_e32 vcc, 31, v9
	v_min_i32_e32 v9, 30, v9
                                        ; implicit-def: $vgpr39
	s_and_saveexec_b64 s[6:7], s[4:5]
	s_xor_b64 s[6:7], exec, s[6:7]
	s_cbranch_execz .LBB0_159
; %bb.158:                              ;   in Loop: Header=BB0_154 Depth=2
	v_cmp_gt_i32_e64 s[4:5], 30, v18
	s_and_b64 s[4:5], vcc, s[4:5]
	v_not_b32_e32 v38, v38
	v_cndmask_b32_e64 v39, 0, 1, s[4:5]
	v_sub_u32_e32 v18, 30, v18
	v_sub_u32_e32 v19, v10, v19
	v_add3_u32 v38, v8, v38, v39
	v_max_i32_e32 v18, 0, v18
	v_mul_lo_u32 v38, v38, 30
	v_cndmask_b32_e64 v9, v9, 1, s[4:5]
	v_mad_u64_u32 v[18:19], s[4:5], v19, s43, v[18:19]
	v_add3_u32 v39, v18, v9, v38
                                        ; implicit-def: $vgpr9
.LBB0_159:                              ;   in Loop: Header=BB0_154 Depth=2
	s_andn2_saveexec_b64 s[4:5], s[6:7]
	s_cbranch_execz .LBB0_152
; %bb.160:                              ;   in Loop: Header=BB0_154 Depth=2
	s_and_b64 s[6:7], vcc, s[0:1]
	v_cndmask_b32_e64 v18, 0, 1, s[6:7]
	v_sub_u32_e32 v10, v10, v6
	v_add3_u32 v18, v8, v22, v18
	v_mul_lo_u32 v38, v18, 30
	v_cndmask_b32_e64 v9, v9, 1, s[6:7]
	v_mad_u64_u32 v[18:19], s[6:7], v10, s43, v[4:5]
	v_add3_u32 v39, v18, v9, v38
	s_branch .LBB0_152
.LBB0_161:                              ;   in Loop: Header=BB0_146 Depth=1
	s_or_b64 exec, exec, s[38:39]
	v_readfirstlane_b32 s4, v27
	s_mov_b32 s40, s4
	s_mov_b64 s[36:37], 0
	v_mov_b32_e32 v16, 0
	v_mov_b32_e32 v18, v21
	;; [unrolled: 1-line block ×3, first 2 shown]
	s_branch .LBB0_164
.LBB0_162:                              ;   in Loop: Header=BB0_164 Depth=2
	s_or_b64 exec, exec, s[6:7]
	s_waitcnt vmcnt(0)
	v_cmp_eq_u32_e32 vcc, 31, v9
	s_and_b64 s[4:5], vcc, s[0:1]
	v_cndmask_b32_e64 v36, 0, 1, s[4:5]
	v_min_i32_e32 v9, 30, v9
	v_sub_u32_e32 v10, v10, v6
	v_add3_u32 v8, v8, v22, v36
	v_mul_lo_u32 v36, v8, 30
	v_cndmask_b32_e64 v37, v9, 1, s[4:5]
	v_mad_u64_u32 v[8:9], s[4:5], v10, s43, v[4:5]
	v_add3_u32 v8, v8, v37, v36
	v_cvt_f32_i32_e32 v8, v8
	v_div_scale_f32 v9, s[4:5], s44, s44, v8
	v_rcp_f32_e32 v10, v9
	s_nop 0
	v_fma_f32 v36, -v9, v10, 1.0
	v_fmac_f32_e32 v10, v36, v10
	v_div_scale_f32 v36, vcc, v8, s44, v8
	v_mul_f32_e32 v37, v36, v10
	v_fma_f32 v38, -v9, v37, v36
	v_fmac_f32_e32 v37, v38, v10
	v_fma_f32 v9, -v9, v37, v36
	v_div_fmas_f32 v9, v9, v10, v37
	v_div_fixup_f32 v50, v9, s44, v8
	v_add_f32_e32 v51, v50, v50
	v_cndmask_b32_e64 v52, v51, 1.0, s[2:3]
	v_cmp_eq_f32_e32 vcc, 0, v52
	v_cmp_gt_f32_e64 s[8:9], 0, v52
	s_nop 0
	v_cndmask_b32_e64 v53, |v35|, 1.0, vcc
	v_frexp_mant_f32_e32 v8, v53
	v_cmp_gt_f32_e64 s[4:5], s45, v8
	v_cmp_gt_f32_e64 s[6:7], 1.0, v53
	s_nop 0
	v_cndmask_b32_e64 v9, 1.0, 2.0, s[4:5]
	v_mul_f32_e32 v8, v8, v9
	v_add_f32_e32 v10, 1.0, v8
	v_rcp_f32_e32 v42, v10
	v_add_f32_e32 v9, -1.0, v10
	v_sub_f32_e32 v37, v8, v9
	v_add_f32_e32 v9, -1.0, v8
	v_mul_f32_e32 v43, v9, v42
	v_mul_f32_e32 v36, v10, v43
	v_fma_f32 v38, v43, v10, -v36
	v_fmac_f32_e32 v38, v43, v37
	v_add_f32_e32 v8, v36, v38
	v_sub_f32_e32 v37, v9, v8
	v_pk_add_f32 v[40:41], v[8:9], v[36:37] neg_lo:[0,1] neg_hi:[0,1]
	v_mov_b32_e32 v39, v8
	v_pk_add_f32 v[8:9], v[40:41], v[38:39] neg_lo:[0,1] neg_hi:[0,1]
	s_nop 0
	v_add_f32_e32 v8, v8, v9
	v_add_f32_e32 v8, v37, v8
	v_mul_f32_e32 v9, v42, v8
	v_add_f32_e32 v8, v43, v9
	v_sub_f32_e32 v10, v8, v43
	v_sub_f32_e32 v44, v9, v10
	v_mul_f32_e32 v9, v8, v8
	v_fma_f32 v10, v8, v8, -v9
	v_add_f32_e32 v36, v44, v44
	v_fmac_f32_e32 v10, v8, v36
	v_add_f32_e32 v36, v9, v10
	v_fmamk_f32 v37, v36, 0x3e76c4e1, v29
	v_fmaak_f32 v37, v36, v37, 0x3ecccdef
	v_sub_f32_e32 v9, v36, v9
	v_sub_f32_e32 v10, v10, v9
	v_mul_f32_e32 v9, v36, v37
	v_fma_f32 v38, v36, v37, -v9
	v_fmac_f32_e32 v38, v10, v37
	v_add_f32_e32 v37, v9, v38
	v_add_f32_e32 v39, 0x3f2aaaaa, v37
	v_sub_f32_e32 v9, v37, v9
	v_sub_f32_e32 v9, v38, v9
	v_add_f32_e32 v38, 0xbf2aaaaa, v39
	v_add_f32_e32 v9, 0x31739010, v9
	v_sub_f32_e32 v37, v37, v38
	v_pk_mul_f32 v[40:41], v[8:9], v[36:37]
	v_pk_add_f32 v[42:43], v[8:9], v[36:37]
	v_fma_f32 v38, v36, v8, -v40
	v_fmac_f32_e32 v38, v36, v44
	v_mov_b32_e32 v41, v43
	v_fmac_f32_e32 v38, v10, v8
	v_pk_add_f32 v[36:37], v[40:41], v[38:39]
	s_nop 0
	v_sub_f32_e32 v10, v39, v37
	v_sub_f32_e32 v9, v36, v40
	v_add_f32_e32 v42, v43, v10
	v_mov_b32_e32 v10, v37
	v_cvt_f64_f32_e32 v[40:41], v53
	v_sub_f32_e32 v9, v38, v9
	v_pk_mul_f32 v[38:39], v[36:37], v[10:11]
	v_frexp_exp_i32_f64_e32 v10, v[40:41]
	v_subbrev_co_u32_e64 v10, s[4:5], 0, v10, s[4:5]
	v_cvt_f32_i32_e32 v10, v10
	v_fma_f32 v40, v36, v37, -v38
	v_fmac_f32_e32 v40, v36, v42
	v_fmac_f32_e32 v40, v9, v37
	v_mul_f32_e32 v36, 0x3f317218, v10
	v_fma_f32 v42, v10, s46, -v36
	v_fmac_f32_e32 v42, 0xb102e308, v10
	v_ldexp_f32 v43, v8, 1
	v_add_f32_e32 v37, v38, v40
	v_pk_add_f32 v[8:9], v[36:37], v[42:43]
	v_ldexp_f32 v10, v44, 1
	v_mov_b32_e32 v44, v37
	v_mov_b32_e32 v45, v9
	;; [unrolled: 1-line block ×3, first 2 shown]
	v_pk_add_f32 v[38:39], v[44:45], v[38:39] neg_lo:[0,1] neg_hi:[0,1]
	v_mov_b32_e32 v41, v37
	v_pk_add_f32 v[38:39], v[40:41], v[38:39] neg_lo:[0,1] neg_hi:[0,1]
	v_mov_b32_e32 v43, v8
	v_add_f32_e32 v10, v10, v38
	v_add_f32_e32 v37, v10, v39
	v_pk_add_f32 v[38:39], v[8:9], v[36:37] neg_lo:[0,1] neg_hi:[0,1]
	v_pk_add_f32 v[40:41], v[8:9], v[36:37]
	v_mov_b32_e32 v44, v38
	v_mov_b32_e32 v45, v41
	v_pk_add_f32 v[44:45], v[42:43], v[44:45]
	v_pk_add_f32 v[38:39], v[42:43], v[38:39] neg_lo:[0,1] neg_hi:[0,1]
	v_mov_b32_e32 v10, v45
	v_pk_add_f32 v[46:47], v[10:11], v[8:9] neg_lo:[0,1] neg_hi:[0,1]
	v_mov_b32_e32 v44, v41
	v_mov_b32_e32 v47, v46
	;; [unrolled: 1-line block ×4, first 2 shown]
	v_pk_add_f32 v[48:49], v[40:41], v[46:47] neg_lo:[0,1] neg_hi:[0,1]
	v_pk_add_f32 v[8:9], v[44:45], v[8:9] neg_lo:[0,1] neg_hi:[0,1]
	v_mov_b32_e32 v42, v37
	v_pk_add_f32 v[8:9], v[42:43], v[8:9] neg_lo:[0,1] neg_hi:[0,1]
	v_mov_b32_e32 v48, v38
	v_pk_add_f32 v[36:37], v[48:49], v[8:9]
	v_mov_b32_e32 v39, v45
	v_mov_b32_e32 v40, v37
	v_pk_add_f32 v[40:41], v[36:37], v[40:41]
	s_nop 0
	v_pk_add_f32 v[42:43], v[10:11], v[40:41]
	v_mov_b32_e32 v9, v40
	v_mov_b32_e32 v37, v42
	v_pk_add_f32 v[44:45], v[36:37], v[38:39] neg_lo:[0,1] neg_hi:[0,1]
	s_nop 0
	v_sub_f32_e32 v10, v36, v44
	v_pk_add_f32 v[8:9], v[8:9], v[44:45] neg_lo:[0,1] neg_hi:[0,1]
	v_sub_f32_e32 v10, v38, v10
	v_add_f32_e32 v8, v8, v10
	v_add_f32_e32 v8, v8, v9
	;; [unrolled: 1-line block ×3, first 2 shown]
	v_sub_f32_e32 v10, v9, v42
	v_sub_f32_e32 v8, v8, v10
	v_mul_f32_e32 v10, v52, v9
	v_fma_f32 v9, v52, v9, -v10
	v_fmac_f32_e32 v9, v52, v8
	v_add_f32_e32 v8, v10, v9
	v_cmp_class_f32_e64 s[4:5], v10, s47
	v_sub_f32_e32 v36, v8, v10
	v_sub_f32_e32 v9, v9, v36
	v_cndmask_b32_e64 v8, v8, v10, s[4:5]
	v_cmp_eq_f32_e64 s[4:5], s49, v8
	s_nop 1
	v_cndmask_b32_e64 v10, 0, v30, s[4:5]
	v_sub_f32_e32 v36, v8, v10
	v_mul_f32_e32 v37, 0x3fb8aa3b, v36
	v_fma_f32 v38, v36, s50, -v37
	v_rndne_f32_e32 v39, v37
	v_fmac_f32_e32 v38, 0x32a5705f, v36
	v_sub_f32_e32 v37, v37, v39
	v_add_f32_e32 v37, v37, v38
	v_exp_f32_e32 v37, v37
	v_cvt_i32_f32_e32 v38, v39
	v_cmp_neq_f32_e64 s[4:5], |v8|, s48
	s_nop 1
	v_cndmask_b32_e64 v8, 0, v9, s[4:5]
	v_ldexp_f32 v9, v37, v38
	v_cmp_ngt_f32_e64 s[4:5], s51, v36
	v_add_f32_e32 v8, v10, v8
	v_trunc_f32_e32 v10, v52
	v_cndmask_b32_e64 v9, 0, v9, s[4:5]
	v_cmp_nlt_f32_e64 s[4:5], s49, v36
	s_nop 1
	v_cndmask_b32_e64 v9, v31, v9, s[4:5]
	v_fma_f32 v8, v9, v8, v9
	v_cmp_class_f32_e64 s[4:5], v9, s47
	s_nop 1
	v_cndmask_b32_e64 v8, v8, v9, s[4:5]
	v_cndmask_b32_e64 v9, v35, 1.0, vcc
	v_cmp_eq_f32_e32 vcc, v10, v52
	v_mul_f32_e32 v10, 0.5, v52
	v_trunc_f32_e32 v36, v10
	v_cmp_neq_f32_e64 s[4:5], v36, v10
	s_and_b64 s[4:5], vcc, s[4:5]
	s_nop 0
	v_cndmask_b32_e64 v10, 1.0, v9, s[4:5]
	v_bfi_b32 v8, s33, v8, v10
	v_cndmask_b32_e32 v10, v32, v8, vcc
	v_cmp_gt_f32_e32 vcc, 0, v9
	s_nop 1
	v_cndmask_b32_e32 v8, v8, v10, vcc
	v_cndmask_b32_e64 v10, |v51|, 1.0, s[2:3]
	v_cmp_neq_f32_e32 vcc, v52, v10
	s_xor_b64 s[6:7], vcc, s[6:7]
	v_cndmask_b32_e64 v36, v10, 0, s[6:7]
	v_cmp_eq_f32_e32 vcc, 1.0, v53
	v_cmp_eq_f32_e64 s[6:7], 0, v9
	s_xor_b64 s[8:9], s[8:9], s[6:7]
	v_cndmask_b32_e32 v36, v36, v53, vcc
	v_cmp_eq_f32_e32 vcc, s48, v10
	v_cndmask_b32_e64 v10, v31, 0, s[8:9]
	s_nop 0
	v_cndmask_b32_e32 v8, v8, v36, vcc
	v_cmp_eq_f32_e32 vcc, s48, v53
	v_cndmask_b32_e64 v36, 0, v9, s[4:5]
	v_bfi_b32 v10, s33, v10, v36
	s_or_b64 vcc, vcc, s[6:7]
	v_cndmask_b32_e32 v8, v8, v10, vcc
	v_div_scale_f32 v10, s[4:5], v8, v8, 1.0
	v_rcp_f32_e32 v36, v10
	s_nop 0
	v_fma_f32 v37, -v10, v36, 1.0
	v_fmac_f32_e32 v36, v37, v36
	v_div_scale_f32 v37, vcc, 1.0, v8, 1.0
	v_mul_f32_e32 v38, v37, v36
	v_fma_f32 v39, -v10, v38, v37
	v_fmac_f32_e32 v38, v39, v36
	v_fma_f32 v10, -v10, v38, v37
	v_div_fmas_f32 v10, v10, v36, v38
	v_div_fixup_f32 v8, v10, v8, 1.0
	v_cmp_o_f32_e32 vcc, v9, v9
	v_mul_f32_e32 v9, v50, v19
	s_nop 0
	v_cndmask_b32_e32 v8, v32, v8, vcc
	v_mul_f32_e32 v9, v8, v9
	v_div_scale_f32 v10, s[4:5], v35, v35, v9
	v_rcp_f32_e32 v36, v10
	v_fmac_f32_e32 v16, v8, v19
	v_fma_f32 v8, -v10, v36, 1.0
	v_fmac_f32_e32 v36, v8, v36
	v_div_scale_f32 v8, vcc, v9, v35, v9
	v_mul_f32_e32 v19, v8, v36
	v_fma_f32 v37, -v10, v19, v8
	v_fmac_f32_e32 v19, v37, v36
	v_fma_f32 v8, -v10, v19, v8
	v_div_fmas_f32 v8, v8, v36, v19
	v_div_fixup_f32 v8, v8, v35, v9
	v_sub_f32_e32 v17, v17, v8
.LBB0_163:                              ;   in Loop: Header=BB0_164 Depth=2
	s_or_b64 exec, exec, s[38:39]
	v_add_u32_e32 v18, -1, v18
	s_add_i32 s40, s40, 52
	v_cmp_eq_u32_e32 vcc, 0, v18
	s_or_b64 s[36:37], vcc, s[36:37]
	s_andn2_b64 exec, exec, s[36:37]
	s_cbranch_execz .LBB0_167
.LBB0_164:                              ;   Parent Loop BB0_146 Depth=1
                                        ; =>  This Inner Loop Header: Depth=2
	s_add_i32 s4, s40, 12
	scratch_load_dword v8, off, s4
	s_waitcnt vmcnt(0)
	v_cmp_ge_i32_e32 vcc, v8, v7
	s_and_saveexec_b64 s[38:39], vcc
	s_cbranch_execz .LBB0_163
; %bb.165:                              ;   in Loop: Header=BB0_164 Depth=2
	s_add_i32 s4, s40, 48
	scratch_load_dword v19, off, s4
	scratch_load_dwordx3 v[8:10], off, s40
	s_waitcnt vmcnt(1)
	v_cmp_eq_f32_e32 vcc, -1.0, v19
	s_and_saveexec_b64 s[6:7], vcc
	s_cbranch_execz .LBB0_162
; %bb.166:                              ;   in Loop: Header=BB0_164 Depth=2
	s_add_i32 s4, s40, 32
	s_add_i32 s5, s40, 16
	scratch_load_dwordx3 v[36:38], off, s4
	scratch_load_dwordx3 v[40:42], off, s5
	s_waitcnt vmcnt(1)
	v_cmp_eq_u32_e32 vcc, 31, v37
	s_waitcnt vmcnt(0)
	v_cmp_gt_i32_e64 s[4:5], 30, v41
	v_min_i32_e32 v19, 30, v37
	v_sub_u32_e32 v37, v38, v42
	v_not_b32_e32 v38, v40
	v_sub_u32_e32 v39, 30, v41
	s_and_b64 vcc, vcc, s[4:5]
	v_addc_co_u32_e64 v38, s[4:5], v36, v38, vcc
	v_max_i32_e32 v36, 0, v39
	v_mul_lo_u32 v38, v38, 30
	v_cndmask_b32_e64 v19, v19, 1, vcc
	v_mad_u64_u32 v[36:37], s[4:5], v37, s43, v[36:37]
	v_add3_u32 v19, v36, v19, v38
	v_cvt_f32_i32_e32 v19, v19
	v_div_scale_f32 v36, s[4:5], s44, s44, v19
	v_rcp_f32_e32 v37, v36
	v_div_scale_f32 v38, vcc, v19, s44, v19
	v_fma_f32 v39, -v36, v37, 1.0
	v_fmac_f32_e32 v37, v39, v37
	v_mul_f32_e32 v39, v38, v37
	v_fma_f32 v40, -v36, v39, v38
	v_fmac_f32_e32 v39, v40, v37
	v_fma_f32 v36, -v36, v39, v38
	v_div_fmas_f32 v36, v36, v37, v39
	v_div_fixup_f32 v19, v36, s44, v19
	scratch_load_dword v36, off, off offset:1028 ; 4-byte Folded Reload
	s_waitcnt vmcnt(0)
	v_fma_f32 v19, v36, v19, 1.0
	v_add_f32_e32 v19, -1.0, v19
	v_mul_f32_e32 v19, 0x42c80000, v19
	s_branch .LBB0_162
.LBB0_167:                              ;   in Loop: Header=BB0_146 Depth=1
	s_or_b64 exec, exec, s[36:37]
	v_cmp_neq_f32_e32 vcc, 0, v16
	v_mov_b32_e32 v10, 0
	s_and_saveexec_b64 s[2:3], vcc
	s_cbranch_execz .LBB0_144
; %bb.168:                              ;   in Loop: Header=BB0_146 Depth=1
	v_div_scale_f32 v8, s[4:5], v16, v16, -v17
	v_rcp_f32_e32 v9, v8
	v_div_scale_f32 v10, vcc, -v17, v16, -v17
	v_fma_f32 v18, -v8, v9, 1.0
	v_fmac_f32_e32 v9, v18, v9
	v_mul_f32_e32 v18, v10, v9
	v_fma_f32 v19, -v8, v18, v10
	v_fmac_f32_e32 v18, v19, v9
	v_fma_f32 v8, -v8, v18, v10
	v_div_fmas_f32 v8, v8, v9, v18
	v_div_fixup_f32 v10, v8, v16, -v17
	s_branch .LBB0_144
.LBB0_169:
	s_or_b64 exec, exec, s[30:31]
.LBB0_170:
	s_or_b64 exec, exec, s[28:29]
	v_mov_b32_e32 v24, v26
.LBB0_171:
	s_or_b64 exec, exec, s[26:27]
	v_mov_b32_e32 v11, v24
.LBB0_172:
	s_or_b64 exec, exec, s[24:25]
	v_mov_b32_e32 v18, v11
.LBB0_173:
	s_or_b64 exec, exec, s[22:23]
.LBB0_174:
	s_or_b64 exec, exec, s[20:21]
	scratch_load_dwordx2 v[6:7], off, off offset:1244 ; 8-byte Folded Reload
	scratch_load_dwordx2 v[24:25], off, off offset:1044 ; 8-byte Folded Reload
	s_waitcnt lgkmcnt(0)
	v_mov_b32_e32 v4, s18
	v_mov_b32_e32 v5, s19
	s_mov_b32 s26, 0
	s_mov_b32 s27, -1
	s_mov_b64 s[18:19], 0
	s_movk_i32 s28, 0x168
	s_mov_b32 s29, 0x43b40000
	s_mov_b32 s30, 0x3fb8aa3b
	;; [unrolled: 1-line block ×7, first 2 shown]
	s_movk_i32 s37, 0x204
	s_brev_b32 s38, -2
	s_waitcnt vmcnt(1)
	v_lshl_add_u64 v[4:5], v[6:7], 2, v[4:5]
	global_store_dword v[4:5], v18, off
	v_lshlrev_b64 v[4:5], 6, v[6:7]
	v_lshl_add_u64 v[8:9], s[10:11], 0, v[4:5]
	global_store_dword v[8:9], v18, off
	s_waitcnt vmcnt(2)
	global_load_dword v11, v[24:25], off offset:12
	global_load_dwordx2 v[16:17], v[8:9], off offset:4
	global_load_dword v22, v[8:9], off offset:60
	global_load_dwordx4 v[4:7], v[8:9], off offset:28
	s_waitcnt vmcnt(3)
	v_cmp_lt_i32_e32 vcc, v3, v11
	s_nop 1
	v_cndmask_b32_e32 v9, v15, v25, vcc
	v_cndmask_b32_e32 v8, v14, v24, vcc
	global_load_dwordx3 v[8:10], v[8:9], off
	v_max_i32_e32 v19, v3, v11
	s_waitcnt vmcnt(3)
	v_div_scale_f32 v11, s[0:1], v17, v17, v18
	v_rcp_f32_e32 v14, v11
	v_cvt_i32_f32_e32 v15, v16
	s_waitcnt vmcnt(1)
	v_cmp_gt_i32_e64 s[2:3], 30, v5
	v_not_b32_e32 v16, v4
	v_sub_u32_e32 v4, 30, v5
	v_fma_f32 v5, -v11, v14, 1.0
	v_fmac_f32_e32 v14, v5, v14
	v_div_scale_f32 v5, vcc, v18, v17, v18
	v_cmp_ne_u32_e64 s[4:5], 0, v22
	v_mul_f32_e32 v22, v5, v14
	v_fma_f32 v23, -v11, v22, v5
	v_fmac_f32_e32 v22, v23, v14
	v_fma_f32 v5, -v11, v22, v5
	v_div_fmas_f32 v5, v5, v14, v22
	v_div_fixup_f32 v5, v5, v17, v18
	v_add_f32_e32 v14, 1.0, v5
                                        ; implicit-def: $vgpr23
	v_max_i32_e32 v4, 0, v4
	v_cmp_eq_f32_e64 s[0:1], 1.0, v14
	v_mov_b32_e32 v11, 0
	v_mov_b32_e32 v5, 0x230
	;; [unrolled: 1-line block ×6, first 2 shown]
	s_branch .LBB0_178
.LBB0_175:                              ;   in Loop: Header=BB0_178 Depth=1
	s_or_b64 exec, exec, s[8:9]
.LBB0_176:                              ;   in Loop: Header=BB0_178 Depth=1
	s_or_b64 exec, exec, s[6:7]
	v_div_scale_f32 v28, s[6:7], v27, v27, 1.0
	v_rcp_f32_e32 v29, v28
	v_div_scale_f32 v30, vcc, 1.0, v27, 1.0
	v_fma_f32 v31, -v28, v29, 1.0
	v_fmac_f32_e32 v29, v31, v29
	v_mul_f32_e32 v31, v30, v29
	v_fma_f32 v32, -v28, v31, v30
	v_fmac_f32_e32 v31, v32, v29
	v_fma_f32 v28, -v28, v31, v30
	v_div_fmas_f32 v28, v28, v29, v31
	v_div_fixup_f32 v27, v28, v27, 1.0
	v_fmac_f32_e32 v11, v26, v27
.LBB0_177:                              ;   in Loop: Header=BB0_178 Depth=1
	s_or_b64 exec, exec, s[20:21]
	s_add_i32 s27, s27, 1
	s_add_i32 s26, s26, 52
	v_cmp_eq_u32_e32 vcc, s27, v56
	s_or_b64 s[18:19], vcc, s[18:19]
	s_andn2_b64 exec, exec, s[18:19]
	s_cbranch_execz .LBB0_196
.LBB0_178:                              ; =>This Inner Loop Header: Depth=1
	v_readfirstlane_b32 s10, v5
	s_add_i32 s10, s10, s26
	s_add_i32 s6, s10, 12
	scratch_load_dword v27, off, s6
	s_waitcnt vmcnt(0)
	v_cmp_ge_i32_e32 vcc, v27, v19
	s_and_saveexec_b64 s[20:21], vcc
	s_cbranch_execz .LBB0_177
; %bb.179:                              ;   in Loop: Header=BB0_178 Depth=1
	s_add_i32 s6, s10, 48
	scratch_load_dword v26, off, s6
	s_waitcnt vmcnt(0)
	v_cmp_eq_f32_e32 vcc, -1.0, v26
	s_and_saveexec_b64 s[8:9], vcc
	s_cbranch_execz .LBB0_181
; %bb.180:                              ;   in Loop: Header=BB0_178 Depth=1
	s_add_i32 s6, s10, 32
	s_add_i32 s7, s10, 16
	scratch_load_dwordx3 v[28:30], off, s6
	scratch_load_dwordx3 v[32:34], off, s7
	s_waitcnt vmcnt(1)
	v_cmp_eq_u32_e32 vcc, 31, v29
	s_waitcnt vmcnt(0)
	v_cmp_gt_i32_e64 s[6:7], 30, v33
	v_not_b32_e32 v26, v32
	v_sub_u32_e32 v31, 30, v33
	s_and_b64 vcc, vcc, s[6:7]
	v_min_i32_e32 v29, 30, v29
	v_sub_u32_e32 v30, v30, v34
	v_addc_co_u32_e64 v28, s[6:7], v28, v26, vcc
	v_max_i32_e32 v26, 0, v31
	v_mul_lo_u32 v31, v28, 30
	v_cndmask_b32_e64 v32, v29, 1, vcc
	v_mad_u64_u32 v[28:29], s[6:7], v30, s28, v[26:27]
	v_add3_u32 v26, v28, v32, v31
	v_cvt_f32_i32_e32 v26, v26
	v_div_scale_f32 v28, s[6:7], s29, s29, v26
	v_rcp_f32_e32 v29, v28
	v_div_scale_f32 v30, vcc, v26, s29, v26
	v_fma_f32 v31, -v28, v29, 1.0
	v_fmac_f32_e32 v29, v31, v29
	v_mul_f32_e32 v31, v30, v29
	v_fma_f32 v32, -v28, v31, v30
	v_fmac_f32_e32 v31, v32, v29
	v_fma_f32 v28, -v28, v31, v30
	v_div_fmas_f32 v28, v28, v29, v31
	v_div_fixup_f32 v26, v28, s29, v26
	scratch_load_dword v28, off, off offset:1028 ; 4-byte Folded Reload
	s_waitcnt vmcnt(0)
	v_fma_f32 v26, v28, v26, 1.0
	v_add_f32_e32 v26, -1.0, v26
	v_mul_f32_e32 v26, 0x42c80000, v26
.LBB0_181:                              ;   in Loop: Header=BB0_178 Depth=1
	s_or_b64 exec, exec, s[8:9]
                                        ; implicit-def: $vgpr28
	s_and_saveexec_b64 s[6:7], s[4:5]
	s_xor_b64 s[6:7], exec, s[6:7]
	s_cbranch_execz .LBB0_183
; %bb.182:                              ;   in Loop: Header=BB0_178 Depth=1
	v_sub_u32_e32 v28, v27, v7
	s_andn2_saveexec_b64 s[6:7], s[6:7]
	s_cbranch_execnz .LBB0_184
	s_branch .LBB0_185
.LBB0_183:                              ;   in Loop: Header=BB0_178 Depth=1
	s_andn2_saveexec_b64 s[6:7], s[6:7]
	s_cbranch_execz .LBB0_185
.LBB0_184:                              ;   in Loop: Header=BB0_178 Depth=1
	scratch_load_dwordx3 v[28:30], off, s10
	s_waitcnt vmcnt(0)
	v_cmp_eq_u32_e32 vcc, 31, v29
	s_and_b64 s[8:9], vcc, s[2:3]
	v_min_i32_e32 v27, 30, v29
	v_sub_u32_e32 v29, v30, v6
	v_cndmask_b32_e64 v30, 0, 1, s[8:9]
	v_add3_u32 v28, v28, v16, v30
	v_cndmask_b32_e64 v27, v27, 1, s[8:9]
	v_mul_lo_u32 v30, v28, 30
	v_mad_u64_u32 v[28:29], s[8:9], v29, s28, v[4:5]
	v_add3_u32 v28, v28, v27, v30
.LBB0_185:                              ;   in Loop: Header=BB0_178 Depth=1
	s_or_b64 exec, exec, s[6:7]
	v_cvt_f32_i32_e32 v27, v28
	v_div_scale_f32 v28, s[6:7], s29, s29, v27
	v_rcp_f32_e32 v29, v28
	v_div_scale_f32 v30, vcc, v27, s29, v27
	v_fma_f32 v31, -v28, v29, 1.0
	v_fmac_f32_e32 v29, v31, v29
	v_mul_f32_e32 v31, v30, v29
	v_fma_f32 v32, -v28, v31, v30
	v_fmac_f32_e32 v31, v32, v29
	v_fma_f32 v28, -v28, v31, v30
	v_div_fmas_f32 v28, v28, v29, v31
	v_div_fixup_f32 v28, v28, s29, v27
	v_cmp_lt_i32_e32 vcc, 0, v15
                                        ; implicit-def: $vgpr27
	s_and_saveexec_b64 s[6:7], vcc
	s_xor_b64 s[22:23], exec, s[6:7]
	s_cbranch_execz .LBB0_193
; %bb.186:                              ;   in Loop: Header=BB0_178 Depth=1
	v_cmp_lt_i32_e32 vcc, 1, v15
                                        ; implicit-def: $vgpr27
	s_and_saveexec_b64 s[6:7], vcc
	s_xor_b64 s[6:7], exec, s[6:7]
	s_cbranch_execz .LBB0_190
; %bb.187:                              ;   in Loop: Header=BB0_178 Depth=1
	v_cmp_eq_u32_e32 vcc, 2, v15
	v_mov_b32_e32 v27, 0
	s_and_saveexec_b64 s[8:9], vcc
	s_cbranch_execz .LBB0_189
; %bb.188:                              ;   in Loop: Header=BB0_178 Depth=1
	v_mul_f32_e32 v27, v18, v28
	v_mul_f32_e32 v28, 0x3fb8aa3b, v27
	v_fma_f32 v29, v27, s30, -v28
	v_rndne_f32_e32 v30, v28
	v_fmac_f32_e32 v29, 0x32a5705f, v27
	v_sub_f32_e32 v28, v28, v30
	v_add_f32_e32 v28, v28, v29
	v_cvt_i32_f32_e32 v29, v30
	v_exp_f32_e32 v28, v28
	v_cmp_ngt_f32_e32 vcc, s31, v27
	v_ldexp_f32 v28, v28, v29
	s_nop 0
	v_cndmask_b32_e32 v28, 0, v28, vcc
	v_cmp_nlt_f32_e32 vcc, s33, v27
	s_nop 1
	v_cndmask_b32_e32 v27, v23, v28, vcc
.LBB0_189:                              ;   in Loop: Header=BB0_178 Depth=1
	s_or_b64 exec, exec, s[8:9]
                                        ; implicit-def: $vgpr28
.LBB0_190:                              ;   in Loop: Header=BB0_178 Depth=1
	s_andn2_saveexec_b64 s[24:25], s[6:7]
	s_cbranch_execz .LBB0_192
; %bb.191:                              ;   in Loop: Header=BB0_178 Depth=1
	v_mul_f32_e32 v44, v17, v28
	v_cndmask_b32_e64 v45, v44, 1.0, s[0:1]
	v_cmp_eq_f32_e32 vcc, 0, v45
	v_cmp_gt_f32_e64 s[10:11], 0, v45
	s_nop 0
	v_cndmask_b32_e64 v46, |v14|, 1.0, vcc
	v_frexp_mant_f32_e32 v27, v46
	v_cmp_gt_f32_e64 s[6:7], s35, v27
	v_cmp_gt_f32_e64 s[8:9], 1.0, v46
	s_nop 0
	v_cndmask_b32_e64 v28, 1.0, 2.0, s[6:7]
	v_mul_f32_e32 v27, v27, v28
	v_add_f32_e32 v28, 1.0, v27
	v_rcp_f32_e32 v36, v28
	v_add_f32_e32 v29, -1.0, v28
	v_sub_f32_e32 v31, v27, v29
	v_add_f32_e32 v29, -1.0, v27
	v_mul_f32_e32 v27, v29, v36
	v_mul_f32_e32 v30, v28, v27
	v_fma_f32 v32, v27, v28, -v30
	v_fmac_f32_e32 v32, v27, v31
	v_add_f32_e32 v28, v30, v32
	v_sub_f32_e32 v31, v29, v28
	v_pk_add_f32 v[34:35], v[28:29], v[30:31] neg_lo:[0,1] neg_hi:[0,1]
	v_mov_b32_e32 v33, v28
	v_pk_add_f32 v[28:29], v[34:35], v[32:33] neg_lo:[0,1] neg_hi:[0,1]
	s_nop 0
	v_add_f32_e32 v28, v28, v29
	v_add_f32_e32 v28, v31, v28
	v_mul_f32_e32 v29, v36, v28
	v_add_f32_e32 v28, v27, v29
	v_sub_f32_e32 v27, v28, v27
	v_sub_f32_e32 v27, v29, v27
	v_mul_f32_e32 v29, v28, v28
	v_fma_f32 v31, v28, v28, -v29
	v_add_f32_e32 v30, v27, v27
	v_fmac_f32_e32 v31, v28, v30
	v_add_f32_e32 v30, v29, v31
	v_fmamk_f32 v32, v30, 0x3e76c4e1, v22
	v_fmaak_f32 v32, v30, v32, 0x3ecccdef
	v_sub_f32_e32 v29, v30, v29
	v_sub_f32_e32 v38, v31, v29
	v_mul_f32_e32 v29, v30, v32
	v_fma_f32 v31, v30, v32, -v29
	v_fmac_f32_e32 v31, v38, v32
	v_add_f32_e32 v32, v29, v31
	v_add_f32_e32 v33, 0x3f2aaaaa, v32
	v_sub_f32_e32 v29, v32, v29
	v_sub_f32_e32 v29, v31, v29
	v_add_f32_e32 v31, 0xbf2aaaaa, v33
	v_add_f32_e32 v29, 0x31739010, v29
	v_sub_f32_e32 v31, v32, v31
	v_pk_mul_f32 v[34:35], v[28:29], v[30:31]
	v_pk_add_f32 v[36:37], v[28:29], v[30:31]
	v_fma_f32 v32, v30, v28, -v34
	v_fmac_f32_e32 v32, v30, v27
	v_mov_b32_e32 v35, v37
	v_fmac_f32_e32 v32, v38, v28
	v_pk_add_f32 v[30:31], v[34:35], v[32:33]
	v_ldexp_f32 v27, v27, 1
	v_sub_f32_e32 v29, v30, v34
	v_sub_f32_e32 v29, v32, v29
	;; [unrolled: 1-line block ×3, first 2 shown]
	v_add_f32_e32 v36, v37, v32
	v_mov_b32_e32 v32, v31
	v_pk_mul_f32 v[32:33], v[30:31], v[32:33]
	v_cvt_f64_f32_e32 v[34:35], v46
	v_frexp_exp_i32_f64_e32 v33, v[34:35]
	v_subbrev_co_u32_e64 v33, s[6:7], 0, v33, s[6:7]
	v_cvt_f32_i32_e32 v33, v33
	v_fma_f32 v34, v30, v31, -v32
	v_fmac_f32_e32 v34, v30, v36
	v_fmac_f32_e32 v34, v29, v31
	v_mul_f32_e32 v30, 0x3f317218, v33
	v_fma_f32 v36, v33, s36, -v30
	v_fmac_f32_e32 v36, 0xb102e308, v33
	v_ldexp_f32 v37, v28, 1
	v_add_f32_e32 v31, v32, v34
	v_pk_add_f32 v[28:29], v[30:31], v[36:37]
	v_mov_b32_e32 v38, v31
	v_mov_b32_e32 v39, v29
	;; [unrolled: 1-line block ×3, first 2 shown]
	v_pk_add_f32 v[32:33], v[38:39], v[32:33] neg_lo:[0,1] neg_hi:[0,1]
	v_mov_b32_e32 v35, v31
	v_pk_add_f32 v[32:33], v[34:35], v[32:33] neg_lo:[0,1] neg_hi:[0,1]
	v_mov_b32_e32 v37, v28
	v_add_f32_e32 v27, v27, v32
	v_add_f32_e32 v31, v27, v33
	v_pk_add_f32 v[32:33], v[28:29], v[30:31] neg_lo:[0,1] neg_hi:[0,1]
	v_pk_add_f32 v[34:35], v[28:29], v[30:31]
	v_mov_b32_e32 v38, v32
	v_mov_b32_e32 v39, v35
	v_pk_add_f32 v[38:39], v[36:37], v[38:39]
	v_pk_add_f32 v[32:33], v[36:37], v[32:33] neg_lo:[0,1] neg_hi:[0,1]
	v_mov_b32_e32 v30, v39
	v_pk_add_f32 v[40:41], v[30:31], v[28:29] neg_lo:[0,1] neg_hi:[0,1]
	v_mov_b32_e32 v38, v35
	v_mov_b32_e32 v27, v40
	;; [unrolled: 1-line block ×4, first 2 shown]
	v_pk_add_f32 v[42:43], v[34:35], v[26:27] neg_lo:[0,1] neg_hi:[0,1]
	v_pk_add_f32 v[28:29], v[38:39], v[28:29] neg_lo:[0,1] neg_hi:[0,1]
	v_mov_b32_e32 v36, v31
	v_pk_add_f32 v[28:29], v[36:37], v[28:29] neg_lo:[0,1] neg_hi:[0,1]
	v_mov_b32_e32 v42, v32
	v_pk_add_f32 v[34:35], v[42:43], v[28:29]
	v_mov_b32_e32 v33, v39
	v_mov_b32_e32 v36, v35
	v_pk_add_f32 v[36:37], v[34:35], v[36:37]
	s_nop 0
	v_pk_add_f32 v[30:31], v[30:31], v[36:37]
	v_mov_b32_e32 v29, v36
	v_mov_b32_e32 v35, v30
	v_pk_add_f32 v[38:39], v[34:35], v[32:33] neg_lo:[0,1] neg_hi:[0,1]
	s_nop 0
	v_sub_f32_e32 v27, v34, v38
	v_pk_add_f32 v[28:29], v[28:29], v[38:39] neg_lo:[0,1] neg_hi:[0,1]
	v_sub_f32_e32 v27, v32, v27
	v_add_f32_e32 v27, v28, v27
	v_add_f32_e32 v27, v27, v29
	;; [unrolled: 1-line block ×3, first 2 shown]
	v_sub_f32_e32 v29, v28, v30
	v_sub_f32_e32 v27, v27, v29
	v_mul_f32_e32 v29, v45, v28
	v_fma_f32 v28, v45, v28, -v29
	v_fmac_f32_e32 v28, v45, v27
	v_add_f32_e32 v27, v29, v28
	v_cmp_class_f32_e64 s[6:7], v29, s37
	v_sub_f32_e32 v30, v27, v29
	v_sub_f32_e32 v28, v28, v30
	v_cndmask_b32_e64 v27, v27, v29, s[6:7]
	v_cmp_eq_f32_e64 s[6:7], s33, v27
	s_nop 1
	v_cndmask_b32_e64 v29, 0, v24, s[6:7]
	v_sub_f32_e32 v30, v27, v29
	v_mul_f32_e32 v31, 0x3fb8aa3b, v30
	v_fma_f32 v32, v30, s30, -v31
	v_rndne_f32_e32 v33, v31
	v_fmac_f32_e32 v32, 0x32a5705f, v30
	v_sub_f32_e32 v31, v31, v33
	v_add_f32_e32 v31, v31, v32
	v_exp_f32_e32 v31, v31
	v_cvt_i32_f32_e32 v32, v33
	v_cmp_neq_f32_e64 s[6:7], |v27|, s34
	s_nop 1
	v_cndmask_b32_e64 v27, 0, v28, s[6:7]
	v_ldexp_f32 v28, v31, v32
	v_cmp_ngt_f32_e64 s[6:7], s31, v30
	v_add_f32_e32 v27, v29, v27
	v_trunc_f32_e32 v29, v45
	v_cndmask_b32_e64 v28, 0, v28, s[6:7]
	v_cmp_nlt_f32_e64 s[6:7], s33, v30
	s_nop 1
	v_cndmask_b32_e64 v28, v23, v28, s[6:7]
	v_fma_f32 v27, v28, v27, v28
	v_cmp_class_f32_e64 s[6:7], v28, s37
	s_nop 1
	v_cndmask_b32_e64 v27, v27, v28, s[6:7]
	v_cndmask_b32_e64 v28, v14, 1.0, vcc
	v_cmp_eq_f32_e32 vcc, v29, v45
	v_mul_f32_e32 v29, 0.5, v45
	v_trunc_f32_e32 v30, v29
	v_cmp_neq_f32_e64 s[6:7], v30, v29
	s_and_b64 s[6:7], vcc, s[6:7]
	s_nop 0
	v_cndmask_b32_e64 v29, 1.0, v28, s[6:7]
	v_bfi_b32 v27, s38, v27, v29
	v_cndmask_b32_e32 v29, v25, v27, vcc
	v_cmp_gt_f32_e32 vcc, 0, v28
	s_nop 1
	v_cndmask_b32_e32 v27, v27, v29, vcc
	v_cndmask_b32_e64 v29, |v44|, 1.0, s[0:1]
	v_cmp_neq_f32_e32 vcc, v45, v29
	s_xor_b64 s[8:9], vcc, s[8:9]
	v_cndmask_b32_e64 v30, v29, 0, s[8:9]
	v_cmp_eq_f32_e32 vcc, 1.0, v46
	v_cmp_eq_f32_e64 s[8:9], 0, v28
	s_xor_b64 s[10:11], s[10:11], s[8:9]
	v_cndmask_b32_e32 v30, v30, v46, vcc
	v_cmp_eq_f32_e32 vcc, s34, v29
	v_cndmask_b32_e64 v29, v23, 0, s[10:11]
	s_nop 0
	v_cndmask_b32_e32 v27, v27, v30, vcc
	v_cmp_eq_f32_e32 vcc, s34, v46
	v_cndmask_b32_e64 v30, 0, v28, s[6:7]
	v_bfi_b32 v29, s38, v29, v30
	s_or_b64 vcc, vcc, s[8:9]
	v_cndmask_b32_e32 v27, v27, v29, vcc
	v_cmp_o_f32_e32 vcc, v28, v45
	s_nop 1
	v_cndmask_b32_e32 v27, v25, v27, vcc
.LBB0_192:                              ;   in Loop: Header=BB0_178 Depth=1
	s_or_b64 exec, exec, s[24:25]
                                        ; implicit-def: $vgpr28
.LBB0_193:                              ;   in Loop: Header=BB0_178 Depth=1
	s_andn2_saveexec_b64 s[6:7], s[22:23]
	s_cbranch_execz .LBB0_176
; %bb.194:                              ;   in Loop: Header=BB0_178 Depth=1
	v_cmp_eq_u32_e32 vcc, 0, v15
	v_mov_b32_e32 v27, 0
	s_and_saveexec_b64 s[8:9], vcc
	s_cbranch_execz .LBB0_175
; %bb.195:                              ;   in Loop: Header=BB0_178 Depth=1
	v_fma_f32 v27, v18, v28, 1.0
	s_branch .LBB0_175
.LBB0_196:
	s_or_b64 exec, exec, s[18:19]
                                        ; implicit-def: $vgpr22
	s_and_saveexec_b64 s[6:7], s[4:5]
	s_xor_b64 s[4:5], exec, s[6:7]
; %bb.197:
	v_sub_u32_e32 v22, v19, v7
                                        ; implicit-def: $vgpr4_vgpr5_vgpr6_vgpr7
                                        ; implicit-def: $vgpr8_vgpr9_vgpr10
                                        ; implicit-def: $vgpr16
                                        ; implicit-def: $vgpr4
; %bb.198:
	s_andn2_saveexec_b64 s[4:5], s[4:5]
; %bb.199:
	v_cmp_eq_u32_e32 vcc, 31, v9
	s_and_b64 s[2:3], vcc, s[2:3]
	v_cndmask_b32_e64 v5, 0, 1, s[2:3]
	v_min_i32_e32 v7, 30, v9
	v_sub_u32_e32 v6, v10, v6
	v_add3_u32 v5, v8, v16, v5
	v_cndmask_b32_e64 v7, v7, 1, s[2:3]
	s_movk_i32 s2, 0x168
	v_mul_lo_u32 v8, v5, 30
	v_mad_u64_u32 v[4:5], s[2:3], v6, s2, v[4:5]
	v_add3_u32 v22, v4, v7, v8
; %bb.200:
	s_or_b64 exec, exec, s[4:5]
	v_cvt_f32_i32_e32 v4, v22
	s_mov_b32 s4, 0x43b40000
	v_div_scale_f32 v5, s[2:3], s4, s4, v4
	v_rcp_f32_e32 v6, v5
	v_div_scale_f32 v7, vcc, v4, s4, v4
	v_fma_f32 v8, -v5, v6, 1.0
	v_fmac_f32_e32 v6, v8, v6
	v_mul_f32_e32 v8, v7, v6
	v_fma_f32 v9, -v5, v8, v7
	v_fmac_f32_e32 v8, v9, v6
	v_fma_f32 v5, -v5, v8, v7
	v_div_fmas_f32 v5, v5, v6, v8
	v_div_fixup_f32 v5, v5, s4, v4
	v_cmp_lt_i32_e32 vcc, 0, v15
                                        ; implicit-def: $vgpr4
	s_and_saveexec_b64 s[2:3], vcc
	s_xor_b64 s[6:7], exec, s[2:3]
	s_cbranch_execz .LBB0_208
; %bb.201:
	v_cmp_lt_i32_e32 vcc, 1, v15
                                        ; implicit-def: $vgpr4
	s_and_saveexec_b64 s[2:3], vcc
	s_xor_b64 s[2:3], exec, s[2:3]
	s_cbranch_execz .LBB0_205
; %bb.202:
	v_cmp_eq_u32_e32 vcc, 2, v15
	v_mov_b32_e32 v4, 0
	s_and_saveexec_b64 s[4:5], vcc
	s_cbranch_execz .LBB0_204
; %bb.203:
	v_mul_f32_e32 v4, v18, v5
	s_mov_b32 s8, 0x3fb8aa3b
	v_mul_f32_e32 v5, 0x3fb8aa3b, v4
	v_fma_f32 v6, v4, s8, -v5
	v_rndne_f32_e32 v7, v5
	v_fmamk_f32 v6, v4, 0x32a5705f, v6
	v_sub_f32_e32 v5, v5, v7
	v_add_f32_e32 v5, v5, v6
	v_exp_f32_e32 v5, v5
	v_cvt_i32_f32_e32 v6, v7
	s_mov_b32 s8, 0xc2ce8ed0
	v_cmp_ngt_f32_e32 vcc, s8, v4
	s_mov_b32 s8, 0x42b17218
	v_ldexp_f32 v5, v5, v6
	v_cndmask_b32_e32 v5, 0, v5, vcc
	v_mov_b32_e32 v6, 0x7f800000
	v_cmp_nlt_f32_e32 vcc, s8, v4
	s_nop 1
	v_cndmask_b32_e32 v4, v6, v5, vcc
.LBB0_204:
	s_or_b64 exec, exec, s[4:5]
                                        ; implicit-def: $vgpr16_vgpr17
                                        ; implicit-def: $vgpr5
                                        ; implicit-def: $vgpr14
.LBB0_205:
	s_andn2_saveexec_b64 s[8:9], s[2:3]
	s_cbranch_execz .LBB0_207
; %bb.206:
	v_mul_f32_e32 v28, v17, v5
	v_cndmask_b32_e64 v29, v28, 1.0, s[0:1]
	v_cmp_eq_f32_e32 vcc, 0, v29
	s_mov_b32 s2, 0x3f2aaaab
	s_movk_i32 s4, 0x204
	v_cndmask_b32_e64 v30, |v14|, 1.0, vcc
	v_frexp_mant_f32_e32 v4, v30
	v_cmp_gt_f32_e64 s[2:3], s2, v4
	s_mov_b32 s10, 0x42b17218
	s_mov_b32 s5, 0x7f800000
	v_cndmask_b32_e64 v5, 1.0, 2.0, s[2:3]
	v_mul_f32_e32 v4, v4, v5
	v_add_f32_e32 v7, 1.0, v4
	v_rcp_f32_e32 v10, v7
	v_add_f32_e32 v5, -1.0, v7
	v_sub_f32_e32 v9, v4, v5
	v_add_f32_e32 v5, -1.0, v4
	v_mul_f32_e32 v15, v5, v10
	v_mul_f32_e32 v6, v7, v15
	v_fma_f32 v8, v15, v7, -v6
	v_fmac_f32_e32 v8, v15, v9
	v_add_f32_e32 v4, v6, v8
	v_sub_f32_e32 v7, v5, v4
	v_pk_add_f32 v[16:17], v[4:5], v[6:7] neg_lo:[0,1] neg_hi:[0,1]
	v_mov_b32_e32 v9, v4
	v_pk_add_f32 v[4:5], v[16:17], v[8:9] neg_lo:[0,1] neg_hi:[0,1]
	v_mov_b32_e32 v8, 0x3e91f4c4
	v_add_f32_e32 v4, v4, v5
	v_add_f32_e32 v4, v7, v4
	v_mul_f32_e32 v5, v10, v4
	v_add_f32_e32 v4, v15, v5
	v_sub_f32_e32 v6, v4, v15
	v_sub_f32_e32 v10, v5, v6
	v_mul_f32_e32 v5, v4, v4
	v_fma_f32 v7, v4, v4, -v5
	v_add_f32_e32 v6, v10, v10
	v_fmac_f32_e32 v7, v4, v6
	v_add_f32_e32 v6, v5, v7
	v_fmac_f32_e32 v8, 0x3e76c4e1, v6
	v_fmaak_f32 v8, v6, v8, 0x3ecccdef
	v_sub_f32_e32 v5, v6, v5
	v_sub_f32_e32 v15, v7, v5
	v_mul_f32_e32 v5, v6, v8
	v_fma_f32 v7, v6, v8, -v5
	v_fmac_f32_e32 v7, v15, v8
	v_add_f32_e32 v8, v5, v7
	v_add_f32_e32 v9, 0x3f2aaaaa, v8
	v_sub_f32_e32 v5, v8, v5
	v_sub_f32_e32 v5, v7, v5
	v_add_f32_e32 v7, 0xbf2aaaaa, v9
	v_add_f32_e32 v5, 0x31739010, v5
	v_sub_f32_e32 v7, v8, v7
	v_pk_mul_f32 v[16:17], v[4:5], v[6:7]
	v_pk_add_f32 v[18:19], v[4:5], v[6:7]
	v_fma_f32 v8, v6, v4, -v16
	v_fmac_f32_e32 v8, v6, v10
	v_mov_b32_e32 v17, v19
	v_fmac_f32_e32 v8, v15, v4
	v_pk_add_f32 v[6:7], v[16:17], v[8:9]
	v_ldexp_f32 v10, v10, 1
	v_sub_f32_e32 v5, v6, v16
	v_sub_f32_e32 v5, v8, v5
	;; [unrolled: 1-line block ×3, first 2 shown]
	v_add_f32_e32 v15, v19, v8
	v_mov_b32_e32 v8, v7
	v_pk_mul_f32 v[8:9], v[6:7], v[8:9]
	v_cvt_f64_f32_e32 v[18:19], v30
	v_frexp_exp_i32_f64_e32 v9, v[18:19]
	v_subbrev_co_u32_e64 v9, s[2:3], 0, v9, s[2:3]
	v_cvt_f32_i32_e32 v9, v9
	v_fma_f32 v16, v6, v7, -v8
	v_fmac_f32_e32 v16, v6, v15
	s_mov_b32 s2, 0x3f317218
	v_mul_f32_e32 v6, 0x3f317218, v9
	v_fmac_f32_e32 v16, v5, v7
	v_fma_f32 v5, v9, s2, -v6
	v_fmamk_f32 v18, v9, 0xb102e308, v5
	v_ldexp_f32 v19, v4, 1
	v_add_f32_e32 v7, v8, v16
	v_pk_add_f32 v[4:5], v[6:7], v[18:19]
	v_mov_b32_e32 v22, v7
	v_mov_b32_e32 v23, v5
	;; [unrolled: 1-line block ×3, first 2 shown]
	v_pk_add_f32 v[8:9], v[22:23], v[8:9] neg_lo:[0,1] neg_hi:[0,1]
	v_mov_b32_e32 v17, v7
	v_pk_add_f32 v[8:9], v[16:17], v[8:9] neg_lo:[0,1] neg_hi:[0,1]
	v_mov_b32_e32 v19, v4
	v_add_f32_e32 v7, v10, v8
	v_add_f32_e32 v7, v7, v9
	v_pk_add_f32 v[8:9], v[4:5], v[6:7] neg_lo:[0,1] neg_hi:[0,1]
	v_pk_add_f32 v[16:17], v[4:5], v[6:7]
	v_mov_b32_e32 v22, v8
	v_mov_b32_e32 v23, v17
	v_pk_add_f32 v[22:23], v[18:19], v[22:23]
	v_pk_add_f32 v[8:9], v[18:19], v[8:9] neg_lo:[0,1] neg_hi:[0,1]
	v_mov_b32_e32 v6, v23
	v_pk_add_f32 v[24:25], v[6:7], v[4:5] neg_lo:[0,1] neg_hi:[0,1]
	v_mov_b32_e32 v22, v17
	v_mov_b32_e32 v15, v24
	;; [unrolled: 1-line block ×4, first 2 shown]
	v_pk_add_f32 v[26:27], v[16:17], v[14:15] neg_lo:[0,1] neg_hi:[0,1]
	v_pk_add_f32 v[4:5], v[22:23], v[4:5] neg_lo:[0,1] neg_hi:[0,1]
	v_mov_b32_e32 v18, v7
	v_pk_add_f32 v[4:5], v[18:19], v[4:5] neg_lo:[0,1] neg_hi:[0,1]
	v_mov_b32_e32 v26, v8
	v_pk_add_f32 v[16:17], v[26:27], v[4:5]
	v_mov_b32_e32 v9, v23
	v_mov_b32_e32 v10, v17
	v_pk_add_f32 v[18:19], v[16:17], v[10:11]
	s_nop 0
	v_pk_add_f32 v[6:7], v[6:7], v[18:19]
	v_mov_b32_e32 v5, v18
	v_mov_b32_e32 v17, v6
	v_pk_add_f32 v[22:23], v[16:17], v[8:9] neg_lo:[0,1] neg_hi:[0,1]
	s_nop 0
	v_sub_f32_e32 v7, v16, v22
	v_pk_add_f32 v[4:5], v[4:5], v[22:23] neg_lo:[0,1] neg_hi:[0,1]
	v_sub_f32_e32 v7, v8, v7
	v_add_f32_e32 v4, v4, v7
	v_add_f32_e32 v4, v4, v5
	;; [unrolled: 1-line block ×3, first 2 shown]
	v_sub_f32_e32 v6, v5, v6
	v_sub_f32_e32 v4, v4, v6
	v_mul_f32_e32 v6, v29, v5
	v_fma_f32 v5, v29, v5, -v6
	v_fmac_f32_e32 v5, v29, v4
	v_add_f32_e32 v4, v6, v5
	v_cmp_class_f32_e64 s[2:3], v6, s4
	v_sub_f32_e32 v7, v4, v6
	v_sub_f32_e32 v5, v5, v7
	v_cndmask_b32_e64 v4, v4, v6, s[2:3]
	v_mov_b32_e32 v6, 0x37000000
	v_cmp_eq_f32_e64 s[2:3], s10, v4
	s_nop 1
	v_cndmask_b32_e64 v6, 0, v6, s[2:3]
	v_sub_f32_e32 v7, v4, v6
	s_mov_b32 s2, 0x3fb8aa3b
	v_mul_f32_e32 v8, 0x3fb8aa3b, v7
	v_fma_f32 v9, v7, s2, -v8
	v_rndne_f32_e32 v10, v8
	v_fmamk_f32 v9, v7, 0x32a5705f, v9
	v_sub_f32_e32 v8, v8, v10
	v_add_f32_e32 v8, v8, v9
	v_exp_f32_e32 v8, v8
	v_cvt_i32_f32_e32 v9, v10
	v_cmp_neq_f32_e64 s[2:3], |v4|, s5
	s_nop 1
	v_cndmask_b32_e64 v4, 0, v5, s[2:3]
	s_mov_b32 s2, 0xc2ce8ed0
	v_ldexp_f32 v5, v8, v9
	v_cmp_ngt_f32_e64 s[2:3], s2, v7
	v_add_f32_e32 v4, v6, v4
	v_mov_b32_e32 v6, 0x7f800000
	v_cndmask_b32_e64 v5, 0, v5, s[2:3]
	v_cmp_nlt_f32_e64 s[2:3], s10, v7
	v_trunc_f32_e32 v7, v29
	s_brev_b32 s10, -2
	v_cndmask_b32_e64 v5, v6, v5, s[2:3]
	v_fma_f32 v4, v5, v4, v5
	v_cmp_class_f32_e64 s[2:3], v5, s4
	v_mov_b32_e32 v8, 0x7fc00000
	s_nop 0
	v_cndmask_b32_e64 v4, v4, v5, s[2:3]
	v_cndmask_b32_e64 v5, v14, 1.0, vcc
	v_cmp_eq_f32_e32 vcc, v7, v29
	v_mul_f32_e32 v7, 0.5, v29
	v_trunc_f32_e32 v9, v7
	v_cmp_neq_f32_e64 s[2:3], v9, v7
	s_and_b64 s[2:3], vcc, s[2:3]
	s_nop 0
	v_cndmask_b32_e64 v7, 1.0, v5, s[2:3]
	v_bfi_b32 v4, s10, v4, v7
	v_cndmask_b32_e32 v7, v8, v4, vcc
	v_cmp_gt_f32_e32 vcc, 0, v5
	s_nop 1
	v_cndmask_b32_e32 v4, v4, v7, vcc
	v_cndmask_b32_e64 v7, |v28|, 1.0, s[0:1]
	v_cmp_neq_f32_e32 vcc, v29, v7
	v_cmp_gt_f32_e64 s[0:1], 1.0, v30
	s_xor_b64 s[0:1], vcc, s[0:1]
	v_cmp_eq_f32_e32 vcc, 1.0, v30
	v_cndmask_b32_e64 v9, v7, 0, s[0:1]
	v_cmp_eq_f32_e64 s[0:1], 0, v5
	v_cndmask_b32_e32 v9, v9, v30, vcc
	v_cmp_eq_f32_e32 vcc, s5, v7
	v_cndmask_b32_e64 v7, 0, v5, s[2:3]
	s_nop 0
	v_cndmask_b32_e32 v4, v4, v9, vcc
	v_cmp_eq_f32_e32 vcc, s5, v30
	v_cmp_gt_f32_e64 s[4:5], 0, v29
	s_xor_b64 s[4:5], s[4:5], s[0:1]
	s_or_b64 vcc, vcc, s[0:1]
	v_cndmask_b32_e64 v6, v6, 0, s[4:5]
	v_bfi_b32 v6, s10, v6, v7
	v_cndmask_b32_e32 v4, v4, v6, vcc
	v_cmp_o_f32_e32 vcc, v5, v29
	s_nop 1
	v_cndmask_b32_e32 v4, v8, v4, vcc
.LBB0_207:
	s_or_b64 exec, exec, s[8:9]
                                        ; implicit-def: $vgpr15
                                        ; implicit-def: $vgpr18
                                        ; implicit-def: $vgpr5
.LBB0_208:
	s_andn2_saveexec_b64 s[0:1], s[6:7]
	s_cbranch_execz .LBB0_212
; %bb.209:
	v_cmp_eq_u32_e32 vcc, 0, v15
	v_mov_b32_e32 v4, 0
	s_and_saveexec_b64 s[2:3], vcc
; %bb.210:
	v_fma_f32 v4, v18, v5, 1.0
; %bb.211:
	s_or_b64 exec, exec, s[2:3]
.LBB0_212:
	s_or_b64 exec, exec, s[0:1]
	v_div_scale_f32 v5, s[0:1], v4, v4, 1.0
	v_rcp_f32_e32 v6, v5
	v_div_scale_f32 v7, vcc, 1.0, v4, 1.0
	s_mov_b32 s2, 0x42c80000
	v_fma_f32 v8, -v5, v6, 1.0
	v_fmac_f32_e32 v6, v8, v6
	v_mul_f32_e32 v8, v7, v6
	v_fma_f32 v9, -v5, v8, v7
	v_fmac_f32_e32 v8, v9, v6
	v_fma_f32 v5, -v5, v8, v7
	v_div_fmas_f32 v5, v5, v6, v8
	v_div_fixup_f32 v4, v5, v4, 1.0
	v_div_scale_f32 v5, s[0:1], v4, v4, v11
	v_rcp_f32_e32 v6, v5
	s_mov_b32 s6, 0
	v_fma_f32 v7, -v5, v6, 1.0
	v_fmac_f32_e32 v6, v7, v6
	v_div_scale_f32 v7, vcc, v11, v4, v11
	v_mul_f32_e32 v8, v7, v6
	v_fma_f32 v9, -v5, v8, v7
	v_fmac_f32_e32 v8, v9, v6
	v_fma_f32 v5, -v5, v8, v7
	v_div_fmas_f32 v5, v5, v6, v8
	v_div_fixup_f32 v4, v5, v4, v11
	v_mul_f32_e32 v6, 0x42c80000, v4
	v_div_scale_f32 v7, s[0:1], s2, s2, v6
	v_rcp_f32_e32 v8, v7
	v_mov_b32_e32 v4, s12
	v_mov_b32_e32 v5, s13
	s_mov_b64 s[0:1], 0
	v_fma_f32 v9, -v7, v8, 1.0
	v_fmac_f32_e32 v8, v9, v8
	v_div_scale_f32 v9, vcc, v6, s2, v6
	v_mul_f32_e32 v10, v9, v8
	v_fma_f32 v11, -v7, v10, v9
	v_fmac_f32_e32 v10, v11, v8
	v_fma_f32 v7, -v7, v10, v9
	v_div_fmas_f32 v7, v7, v8, v10
	scratch_load_dwordx2 v[8:9], off, off offset:1244 ; 8-byte Folded Reload
	v_div_fixup_f32 v6, v7, s2, v6
                                        ; implicit-def: $sgpr2_sgpr3
	s_waitcnt vmcnt(0)
	v_lshl_add_u64 v[4:5], v[8:9], 2, v[4:5]
	global_store_dword v[4:5], v6, off
	s_branch .LBB0_214
.LBB0_213:                              ;   in Loop: Header=BB0_214 Depth=1
	s_or_b64 exec, exec, s[4:5]
	s_and_b64 s[4:5], exec, s[2:3]
	s_or_b64 s[0:1], s[4:5], s[0:1]
	s_andn2_b64 exec, exec, s[0:1]
	s_cbranch_execz .LBB0_216
.LBB0_214:                              ; =>This Inner Loop Header: Depth=1
	scratch_load_dword v6, v20, off
	v_mov_b32_e32 v10, s6
	s_or_b64 s[2:3], s[2:3], exec
	s_waitcnt vmcnt(0)
	v_cmp_lt_i32_e32 vcc, v6, v3
	s_and_saveexec_b64 s[4:5], vcc
	s_cbranch_execz .LBB0_213
; %bb.215:                              ;   in Loop: Header=BB0_214 Depth=1
	s_add_i32 s6, s6, 1
	v_cmp_eq_u32_e32 vcc, s6, v21
	s_andn2_b64 s[2:3], s[2:3], exec
	s_and_b64 s[8:9], vcc, exec
	v_add_u32_e32 v20, 52, v20
	s_or_b64 s[2:3], s[2:3], s[8:9]
	v_mov_b32_e32 v10, v56
	s_branch .LBB0_213
.LBB0_216:
	s_or_b64 exec, exec, s[0:1]
	v_cmp_le_u32_e32 vcc, v10, v56
	v_mov_b32_e32 v6, 0
	s_and_saveexec_b64 s[2:3], vcc
	s_cbranch_execz .LBB0_224
; %bb.217:
	v_mov_b32_e32 v8, 0x230
	v_mad_u64_u32 v[8:9], s[0:1], v10, 52, v[8:9]
	v_lshl_add_u64 v[6:7], v[12:13], 0, 12
	v_add_u32_e32 v10, -1, v10
	s_mov_b64 s[4:5], 0
	v_mov_b32_e32 v9, 0
	s_movk_i32 s10, 0x168
	s_mov_b32 s11, 0x43b40000
	s_branch .LBB0_220
.LBB0_218:                              ;   in Loop: Header=BB0_220 Depth=1
	s_or_b64 exec, exec, s[8:9]
.LBB0_219:                              ;   in Loop: Header=BB0_220 Depth=1
	s_or_b64 exec, exec, s[6:7]
	v_add_u32_e32 v10, 1, v10
	v_cmp_ge_u32_e32 vcc, v10, v56
	v_add_f32_e32 v9, v9, v11
	s_or_b64 s[4:5], vcc, s[4:5]
	v_add_u32_e32 v8, 52, v8
	s_andn2_b64 exec, exec, s[4:5]
	s_cbranch_execz .LBB0_223
.LBB0_220:                              ; =>This Inner Loop Header: Depth=1
	v_add_u32_e32 v11, 28, v8
	scratch_load_dword v11, v11, off
	s_waitcnt vmcnt(0)
	v_cmp_lt_i32_e32 vcc, v11, v3
	v_mov_b32_e32 v11, 0
	s_and_saveexec_b64 s[6:7], vcc
	s_cbranch_execz .LBB0_219
; %bb.221:                              ;   in Loop: Header=BB0_220 Depth=1
	global_load_dword v11, v[6:7], off
	s_waitcnt vmcnt(0)
	v_cmp_ge_i32_e32 vcc, v11, v3
	v_mov_b32_e32 v11, 0
	s_and_saveexec_b64 s[8:9], vcc
	s_cbranch_execz .LBB0_218
; %bb.222:                              ;   in Loop: Header=BB0_220 Depth=1
	v_add_u32_e32 v11, 32, v8
	scratch_load_dwordx4 v[12:15], v11, off
	v_add_u32_e32 v11, 16, v8
	scratch_load_dwordx3 v[16:18], v11, off
	s_waitcnt vmcnt(1)
	v_cmp_gt_i32_e32 vcc, v15, v3
	s_nop 1
	v_cndmask_b32_e32 v13, v13, v1, vcc
	v_cndmask_b32_e32 v11, v12, v0, vcc
	s_waitcnt vmcnt(0)
	v_cmp_gt_i32_e64 s[0:1], 30, v17
	v_sub_u32_e32 v12, 30, v17
	v_cndmask_b32_e32 v14, v14, v2, vcc
	v_cmp_eq_u32_e32 vcc, 31, v13
	v_not_b32_e32 v15, v16
	v_max_i32_e32 v12, 0, v12
	v_min_i32_e32 v16, 30, v13
	v_sub_u32_e32 v13, v14, v18
	s_and_b64 vcc, vcc, s[0:1]
	v_addc_co_u32_e64 v11, s[0:1], v11, v15, vcc
	v_mad_u64_u32 v[12:13], s[0:1], v13, s10, v[12:13]
	v_mul_lo_u32 v11, v11, 30
	v_cndmask_b32_e64 v13, v16, 1, vcc
	v_add3_u32 v11, v12, v13, v11
	v_cvt_f32_i32_e32 v11, v11
	v_div_scale_f32 v12, s[0:1], s11, s11, v11
	v_rcp_f32_e32 v13, v12
	v_div_scale_f32 v14, vcc, v11, s11, v11
	v_fma_f32 v15, -v12, v13, 1.0
	v_fmac_f32_e32 v13, v15, v13
	v_mul_f32_e32 v15, v14, v13
	v_fma_f32 v16, -v12, v15, v14
	v_fmac_f32_e32 v15, v16, v13
	v_fma_f32 v12, -v12, v15, v14
	v_div_fmas_f32 v12, v12, v13, v15
	v_div_fixup_f32 v11, v12, s11, v11
	scratch_load_dword v12, off, off offset:1028 ; 4-byte Folded Reload
	s_waitcnt vmcnt(0)
	v_fma_f32 v11, v12, v11, 1.0
	v_add_f32_e32 v11, -1.0, v11
	v_mul_f32_e32 v11, 0x42c80000, v11
	s_branch .LBB0_218
.LBB0_223:
	s_or_b64 exec, exec, s[4:5]
	v_mul_f32_e32 v6, 0x42c80000, v9
.LBB0_224:
	s_or_b64 exec, exec, s[2:3]
	s_mov_b32 s2, 0x42c80000
	v_div_scale_f32 v0, s[0:1], s2, s2, v6
	v_rcp_f32_e32 v1, v0
	v_div_scale_f32 v2, vcc, v6, s2, v6
	v_fma_f32 v3, -v0, v1, 1.0
	v_fmac_f32_e32 v1, v3, v1
	v_mul_f32_e32 v3, v2, v1
	v_fma_f32 v7, -v0, v3, v2
	v_fmac_f32_e32 v3, v7, v1
	v_fma_f32 v0, -v0, v3, v2
	v_div_fmas_f32 v0, v0, v1, v3
	v_div_fixup_f32 v6, v0, s2, v6
	scratch_load_dwordx2 v[0:1], off, off offset:1244 ; 8-byte Folded Reload
	s_waitcnt vmcnt(0)
	v_lshlrev_b64 v[0:1], 2, v[0:1]
	v_lshl_add_u64 v[2:3], s[14:15], 0, v[0:1]
	global_store_dword v[2:3], v6, off
	global_load_dword v2, v[4:5], off
	v_lshl_add_u64 v[0:1], s[16:17], 0, v[0:1]
	s_waitcnt vmcnt(0)
	v_sub_f32_e32 v2, v2, v6
	global_store_dword v[0:1], v2, off
.LBB0_225:
	s_endpgm
	.section	.rodata,"a",@progbits
	.p2align	6, 0x0
	.amdhsa_kernel _Z5bonds12inArgsStruct13resultsStructi
		.amdhsa_group_segment_fixed_size 0
		.amdhsa_private_segment_fixed_size 1264
		.amdhsa_kernarg_size 352
		.amdhsa_user_sgpr_count 2
		.amdhsa_user_sgpr_dispatch_ptr 0
		.amdhsa_user_sgpr_queue_ptr 0
		.amdhsa_user_sgpr_kernarg_segment_ptr 1
		.amdhsa_user_sgpr_dispatch_id 0
		.amdhsa_user_sgpr_kernarg_preload_length 0
		.amdhsa_user_sgpr_kernarg_preload_offset 0
		.amdhsa_user_sgpr_private_segment_size 0
		.amdhsa_uses_dynamic_stack 0
		.amdhsa_enable_private_segment 1
		.amdhsa_system_sgpr_workgroup_id_x 1
		.amdhsa_system_sgpr_workgroup_id_y 0
		.amdhsa_system_sgpr_workgroup_id_z 0
		.amdhsa_system_sgpr_workgroup_info 0
		.amdhsa_system_vgpr_workitem_id 0
		.amdhsa_next_free_vgpr 128
		.amdhsa_next_free_sgpr 59
		.amdhsa_accum_offset 128
		.amdhsa_reserve_vcc 1
		.amdhsa_float_round_mode_32 0
		.amdhsa_float_round_mode_16_64 0
		.amdhsa_float_denorm_mode_32 3
		.amdhsa_float_denorm_mode_16_64 3
		.amdhsa_dx10_clamp 1
		.amdhsa_ieee_mode 1
		.amdhsa_fp16_overflow 0
		.amdhsa_tg_split 0
		.amdhsa_exception_fp_ieee_invalid_op 0
		.amdhsa_exception_fp_denorm_src 0
		.amdhsa_exception_fp_ieee_div_zero 0
		.amdhsa_exception_fp_ieee_overflow 0
		.amdhsa_exception_fp_ieee_underflow 0
		.amdhsa_exception_fp_ieee_inexact 0
		.amdhsa_exception_int_div_zero 0
	.end_amdhsa_kernel
	.text
.Lfunc_end0:
	.size	_Z5bonds12inArgsStruct13resultsStructi, .Lfunc_end0-_Z5bonds12inArgsStruct13resultsStructi
                                        ; -- End function
	.section	.AMDGPU.csdata,"",@progbits
; Kernel info:
; codeLenInByte = 32572
; NumSgprs: 65
; NumVgprs: 128
; NumAgprs: 0
; TotalNumVgprs: 128
; ScratchSize: 1264
; MemoryBound: 1
; FloatMode: 240
; IeeeMode: 1
; LDSByteSize: 0 bytes/workgroup (compile time only)
; SGPRBlocks: 8
; VGPRBlocks: 15
; NumSGPRsForWavesPerEU: 65
; NumVGPRsForWavesPerEU: 128
; AccumOffset: 128
; Occupancy: 4
; WaveLimiterHint : 0
; COMPUTE_PGM_RSRC2:SCRATCH_EN: 1
; COMPUTE_PGM_RSRC2:USER_SGPR: 2
; COMPUTE_PGM_RSRC2:TRAP_HANDLER: 0
; COMPUTE_PGM_RSRC2:TGID_X_EN: 1
; COMPUTE_PGM_RSRC2:TGID_Y_EN: 0
; COMPUTE_PGM_RSRC2:TGID_Z_EN: 0
; COMPUTE_PGM_RSRC2:TIDIG_COMP_CNT: 0
; COMPUTE_PGM_RSRC3_GFX90A:ACCUM_OFFSET: 31
; COMPUTE_PGM_RSRC3_GFX90A:TG_SPLIT: 0
	.text
	.p2alignl 6, 3212836864
	.fill 256, 4, 3212836864
	.type	__hip_cuid_1ba87ba69bfed698,@object ; @__hip_cuid_1ba87ba69bfed698
	.section	.bss,"aw",@nobits
	.globl	__hip_cuid_1ba87ba69bfed698
__hip_cuid_1ba87ba69bfed698:
	.byte	0                               ; 0x0
	.size	__hip_cuid_1ba87ba69bfed698, 1

	.ident	"AMD clang version 19.0.0git (https://github.com/RadeonOpenCompute/llvm-project roc-6.4.0 25133 c7fe45cf4b819c5991fe208aaa96edf142730f1d)"
	.section	".note.GNU-stack","",@progbits
	.addrsig
	.addrsig_sym __hip_cuid_1ba87ba69bfed698
	.amdgpu_metadata
---
amdhsa.kernels:
  - .agpr_count:     0
    .args:
      - .offset:         0
        .size:           56
        .value_kind:     by_value
      - .offset:         56
        .size:           32
        .value_kind:     by_value
      - .offset:         88
        .size:           4
        .value_kind:     by_value
      - .offset:         96
        .size:           4
        .value_kind:     hidden_block_count_x
      - .offset:         100
        .size:           4
        .value_kind:     hidden_block_count_y
      - .offset:         104
        .size:           4
        .value_kind:     hidden_block_count_z
      - .offset:         108
        .size:           2
        .value_kind:     hidden_group_size_x
      - .offset:         110
        .size:           2
        .value_kind:     hidden_group_size_y
      - .offset:         112
        .size:           2
        .value_kind:     hidden_group_size_z
      - .offset:         114
        .size:           2
        .value_kind:     hidden_remainder_x
      - .offset:         116
        .size:           2
        .value_kind:     hidden_remainder_y
      - .offset:         118
        .size:           2
        .value_kind:     hidden_remainder_z
      - .offset:         136
        .size:           8
        .value_kind:     hidden_global_offset_x
      - .offset:         144
        .size:           8
        .value_kind:     hidden_global_offset_y
      - .offset:         152
        .size:           8
        .value_kind:     hidden_global_offset_z
      - .offset:         160
        .size:           2
        .value_kind:     hidden_grid_dims
    .group_segment_fixed_size: 0
    .kernarg_segment_align: 8
    .kernarg_segment_size: 352
    .language:       OpenCL C
    .language_version:
      - 2
      - 0
    .max_flat_workgroup_size: 1024
    .name:           _Z5bonds12inArgsStruct13resultsStructi
    .private_segment_fixed_size: 1264
    .sgpr_count:     65
    .sgpr_spill_count: 0
    .symbol:         _Z5bonds12inArgsStruct13resultsStructi.kd
    .uniform_work_group_size: 1
    .uses_dynamic_stack: false
    .vgpr_count:     128
    .vgpr_spill_count: 102
    .wavefront_size: 64
amdhsa.target:   amdgcn-amd-amdhsa--gfx942
amdhsa.version:
  - 1
  - 2
...

	.end_amdgpu_metadata
